;; amdgpu-corpus repo=ROCm/rocFFT kind=compiled arch=gfx1201 opt=O3
	.text
	.amdgcn_target "amdgcn-amd-amdhsa--gfx1201"
	.amdhsa_code_object_version 6
	.protected	fft_rtc_back_len182_factors_13_2_7_wgs_52_tpt_13_dp_ip_CI_unitstride_sbrr_R2C_dirReg ; -- Begin function fft_rtc_back_len182_factors_13_2_7_wgs_52_tpt_13_dp_ip_CI_unitstride_sbrr_R2C_dirReg
	.globl	fft_rtc_back_len182_factors_13_2_7_wgs_52_tpt_13_dp_ip_CI_unitstride_sbrr_R2C_dirReg
	.p2align	8
	.type	fft_rtc_back_len182_factors_13_2_7_wgs_52_tpt_13_dp_ip_CI_unitstride_sbrr_R2C_dirReg,@function
fft_rtc_back_len182_factors_13_2_7_wgs_52_tpt_13_dp_ip_CI_unitstride_sbrr_R2C_dirReg: ; @fft_rtc_back_len182_factors_13_2_7_wgs_52_tpt_13_dp_ip_CI_unitstride_sbrr_R2C_dirReg
; %bb.0:
	s_clause 0x2
	s_load_b128 s[4:7], s[0:1], 0x0
	s_load_b64 s[8:9], s[0:1], 0x50
	s_load_b64 s[10:11], s[0:1], 0x18
	v_mul_u32_u24_e32 v1, 0x13b2, v0
	v_mov_b32_e32 v3, 0
	s_delay_alu instid0(VALU_DEP_2) | instskip(SKIP_2) | instid1(VALU_DEP_4)
	v_lshrrev_b32_e32 v9, 16, v1
	v_mov_b32_e32 v1, 0
	v_mov_b32_e32 v2, 0
	;; [unrolled: 1-line block ×3, first 2 shown]
	s_delay_alu instid0(VALU_DEP_4) | instskip(SKIP_2) | instid1(VALU_DEP_1)
	v_lshl_add_u32 v5, ttmp9, 2, v9
	s_wait_kmcnt 0x0
	v_cmp_lt_u64_e64 s2, s[6:7], 2
	s_and_b32 vcc_lo, exec_lo, s2
	s_cbranch_vccnz .LBB0_8
; %bb.1:
	s_load_b64 s[2:3], s[0:1], 0x10
	v_mov_b32_e32 v1, 0
	v_mov_b32_e32 v2, 0
	s_add_nc_u64 s[12:13], s[10:11], 8
	s_mov_b64 s[14:15], 1
	s_wait_kmcnt 0x0
	s_add_nc_u64 s[16:17], s[2:3], 8
	s_mov_b32 s3, 0
.LBB0_2:                                ; =>This Inner Loop Header: Depth=1
	s_load_b64 s[18:19], s[16:17], 0x0
                                        ; implicit-def: $vgpr7_vgpr8
	s_mov_b32 s2, exec_lo
	s_wait_kmcnt 0x0
	v_or_b32_e32 v4, s19, v6
	s_delay_alu instid0(VALU_DEP_1)
	v_cmpx_ne_u64_e32 0, v[3:4]
	s_wait_alu 0xfffe
	s_xor_b32 s20, exec_lo, s2
	s_cbranch_execz .LBB0_4
; %bb.3:                                ;   in Loop: Header=BB0_2 Depth=1
	s_cvt_f32_u32 s2, s18
	s_cvt_f32_u32 s21, s19
	s_sub_nc_u64 s[24:25], 0, s[18:19]
	s_wait_alu 0xfffe
	s_delay_alu instid0(SALU_CYCLE_1) | instskip(SKIP_1) | instid1(SALU_CYCLE_2)
	s_fmamk_f32 s2, s21, 0x4f800000, s2
	s_wait_alu 0xfffe
	v_s_rcp_f32 s2, s2
	s_delay_alu instid0(TRANS32_DEP_1) | instskip(SKIP_1) | instid1(SALU_CYCLE_2)
	s_mul_f32 s2, s2, 0x5f7ffffc
	s_wait_alu 0xfffe
	s_mul_f32 s21, s2, 0x2f800000
	s_wait_alu 0xfffe
	s_delay_alu instid0(SALU_CYCLE_2) | instskip(SKIP_1) | instid1(SALU_CYCLE_2)
	s_trunc_f32 s21, s21
	s_wait_alu 0xfffe
	s_fmamk_f32 s2, s21, 0xcf800000, s2
	s_cvt_u32_f32 s23, s21
	s_wait_alu 0xfffe
	s_delay_alu instid0(SALU_CYCLE_1) | instskip(SKIP_1) | instid1(SALU_CYCLE_2)
	s_cvt_u32_f32 s22, s2
	s_wait_alu 0xfffe
	s_mul_u64 s[26:27], s[24:25], s[22:23]
	s_wait_alu 0xfffe
	s_mul_hi_u32 s29, s22, s27
	s_mul_i32 s28, s22, s27
	s_mul_hi_u32 s2, s22, s26
	s_mul_i32 s30, s23, s26
	s_wait_alu 0xfffe
	s_add_nc_u64 s[28:29], s[2:3], s[28:29]
	s_mul_hi_u32 s21, s23, s26
	s_mul_hi_u32 s31, s23, s27
	s_add_co_u32 s2, s28, s30
	s_wait_alu 0xfffe
	s_add_co_ci_u32 s2, s29, s21
	s_mul_i32 s26, s23, s27
	s_add_co_ci_u32 s27, s31, 0
	s_wait_alu 0xfffe
	s_add_nc_u64 s[26:27], s[2:3], s[26:27]
	s_wait_alu 0xfffe
	v_add_co_u32 v4, s2, s22, s26
	s_delay_alu instid0(VALU_DEP_1) | instskip(SKIP_1) | instid1(VALU_DEP_1)
	s_cmp_lg_u32 s2, 0
	s_add_co_ci_u32 s23, s23, s27
	v_readfirstlane_b32 s22, v4
	s_wait_alu 0xfffe
	s_delay_alu instid0(VALU_DEP_1)
	s_mul_u64 s[24:25], s[24:25], s[22:23]
	s_wait_alu 0xfffe
	s_mul_hi_u32 s27, s22, s25
	s_mul_i32 s26, s22, s25
	s_mul_hi_u32 s2, s22, s24
	s_mul_i32 s28, s23, s24
	s_wait_alu 0xfffe
	s_add_nc_u64 s[26:27], s[2:3], s[26:27]
	s_mul_hi_u32 s21, s23, s24
	s_mul_hi_u32 s22, s23, s25
	s_wait_alu 0xfffe
	s_add_co_u32 s2, s26, s28
	s_add_co_ci_u32 s2, s27, s21
	s_mul_i32 s24, s23, s25
	s_add_co_ci_u32 s25, s22, 0
	s_wait_alu 0xfffe
	s_add_nc_u64 s[24:25], s[2:3], s[24:25]
	s_wait_alu 0xfffe
	v_add_co_u32 v4, s2, v4, s24
	s_delay_alu instid0(VALU_DEP_1) | instskip(SKIP_1) | instid1(VALU_DEP_1)
	s_cmp_lg_u32 s2, 0
	s_add_co_ci_u32 s2, s23, s25
	v_mul_hi_u32 v14, v5, v4
	s_wait_alu 0xfffe
	v_mad_co_u64_u32 v[7:8], null, v5, s2, 0
	v_mad_co_u64_u32 v[10:11], null, v6, v4, 0
	;; [unrolled: 1-line block ×3, first 2 shown]
	s_delay_alu instid0(VALU_DEP_3) | instskip(SKIP_1) | instid1(VALU_DEP_4)
	v_add_co_u32 v4, vcc_lo, v14, v7
	s_wait_alu 0xfffd
	v_add_co_ci_u32_e32 v7, vcc_lo, 0, v8, vcc_lo
	s_delay_alu instid0(VALU_DEP_2) | instskip(SKIP_1) | instid1(VALU_DEP_2)
	v_add_co_u32 v4, vcc_lo, v4, v10
	s_wait_alu 0xfffd
	v_add_co_ci_u32_e32 v4, vcc_lo, v7, v11, vcc_lo
	s_wait_alu 0xfffd
	v_add_co_ci_u32_e32 v7, vcc_lo, 0, v13, vcc_lo
	s_delay_alu instid0(VALU_DEP_2) | instskip(SKIP_1) | instid1(VALU_DEP_2)
	v_add_co_u32 v4, vcc_lo, v4, v12
	s_wait_alu 0xfffd
	v_add_co_ci_u32_e32 v10, vcc_lo, 0, v7, vcc_lo
	s_delay_alu instid0(VALU_DEP_2) | instskip(SKIP_1) | instid1(VALU_DEP_3)
	v_mul_lo_u32 v11, s19, v4
	v_mad_co_u64_u32 v[7:8], null, s18, v4, 0
	v_mul_lo_u32 v12, s18, v10
	s_delay_alu instid0(VALU_DEP_2) | instskip(NEXT) | instid1(VALU_DEP_2)
	v_sub_co_u32 v7, vcc_lo, v5, v7
	v_add3_u32 v8, v8, v12, v11
	s_delay_alu instid0(VALU_DEP_1) | instskip(SKIP_1) | instid1(VALU_DEP_1)
	v_sub_nc_u32_e32 v11, v6, v8
	s_wait_alu 0xfffd
	v_subrev_co_ci_u32_e64 v11, s2, s19, v11, vcc_lo
	v_add_co_u32 v12, s2, v4, 2
	s_wait_alu 0xf1ff
	v_add_co_ci_u32_e64 v13, s2, 0, v10, s2
	v_sub_co_u32 v14, s2, v7, s18
	v_sub_co_ci_u32_e32 v8, vcc_lo, v6, v8, vcc_lo
	s_wait_alu 0xf1ff
	v_subrev_co_ci_u32_e64 v11, s2, 0, v11, s2
	s_delay_alu instid0(VALU_DEP_3) | instskip(NEXT) | instid1(VALU_DEP_3)
	v_cmp_le_u32_e32 vcc_lo, s18, v14
	v_cmp_eq_u32_e64 s2, s19, v8
	s_wait_alu 0xfffd
	v_cndmask_b32_e64 v14, 0, -1, vcc_lo
	v_cmp_le_u32_e32 vcc_lo, s19, v11
	s_wait_alu 0xfffd
	v_cndmask_b32_e64 v15, 0, -1, vcc_lo
	v_cmp_le_u32_e32 vcc_lo, s18, v7
	;; [unrolled: 3-line block ×3, first 2 shown]
	s_wait_alu 0xfffd
	v_cndmask_b32_e64 v16, 0, -1, vcc_lo
	v_cmp_eq_u32_e32 vcc_lo, s19, v11
	s_wait_alu 0xf1ff
	s_delay_alu instid0(VALU_DEP_2)
	v_cndmask_b32_e64 v7, v16, v7, s2
	s_wait_alu 0xfffd
	v_cndmask_b32_e32 v11, v15, v14, vcc_lo
	v_add_co_u32 v14, vcc_lo, v4, 1
	s_wait_alu 0xfffd
	v_add_co_ci_u32_e32 v15, vcc_lo, 0, v10, vcc_lo
	s_delay_alu instid0(VALU_DEP_3) | instskip(SKIP_1) | instid1(VALU_DEP_2)
	v_cmp_ne_u32_e32 vcc_lo, 0, v11
	s_wait_alu 0xfffd
	v_dual_cndmask_b32 v8, v15, v13 :: v_dual_cndmask_b32 v11, v14, v12
	v_cmp_ne_u32_e32 vcc_lo, 0, v7
	s_wait_alu 0xfffd
	s_delay_alu instid0(VALU_DEP_2)
	v_dual_cndmask_b32 v8, v10, v8 :: v_dual_cndmask_b32 v7, v4, v11
.LBB0_4:                                ;   in Loop: Header=BB0_2 Depth=1
	s_wait_alu 0xfffe
	s_and_not1_saveexec_b32 s2, s20
	s_cbranch_execz .LBB0_6
; %bb.5:                                ;   in Loop: Header=BB0_2 Depth=1
	v_cvt_f32_u32_e32 v4, s18
	s_sub_co_i32 s20, 0, s18
	s_delay_alu instid0(VALU_DEP_1) | instskip(NEXT) | instid1(TRANS32_DEP_1)
	v_rcp_iflag_f32_e32 v4, v4
	v_mul_f32_e32 v4, 0x4f7ffffe, v4
	s_delay_alu instid0(VALU_DEP_1) | instskip(SKIP_1) | instid1(VALU_DEP_1)
	v_cvt_u32_f32_e32 v4, v4
	s_wait_alu 0xfffe
	v_mul_lo_u32 v7, s20, v4
	s_delay_alu instid0(VALU_DEP_1) | instskip(NEXT) | instid1(VALU_DEP_1)
	v_mul_hi_u32 v7, v4, v7
	v_add_nc_u32_e32 v4, v4, v7
	s_delay_alu instid0(VALU_DEP_1) | instskip(NEXT) | instid1(VALU_DEP_1)
	v_mul_hi_u32 v4, v5, v4
	v_mul_lo_u32 v7, v4, s18
	v_add_nc_u32_e32 v8, 1, v4
	s_delay_alu instid0(VALU_DEP_2) | instskip(NEXT) | instid1(VALU_DEP_1)
	v_sub_nc_u32_e32 v7, v5, v7
	v_subrev_nc_u32_e32 v10, s18, v7
	v_cmp_le_u32_e32 vcc_lo, s18, v7
	s_wait_alu 0xfffd
	s_delay_alu instid0(VALU_DEP_2) | instskip(NEXT) | instid1(VALU_DEP_1)
	v_dual_cndmask_b32 v7, v7, v10 :: v_dual_cndmask_b32 v4, v4, v8
	v_cmp_le_u32_e32 vcc_lo, s18, v7
	s_delay_alu instid0(VALU_DEP_2) | instskip(SKIP_1) | instid1(VALU_DEP_1)
	v_add_nc_u32_e32 v8, 1, v4
	s_wait_alu 0xfffd
	v_dual_cndmask_b32 v7, v4, v8 :: v_dual_mov_b32 v8, v3
.LBB0_6:                                ;   in Loop: Header=BB0_2 Depth=1
	s_wait_alu 0xfffe
	s_or_b32 exec_lo, exec_lo, s2
	s_load_b64 s[20:21], s[12:13], 0x0
	s_delay_alu instid0(VALU_DEP_1)
	v_mul_lo_u32 v4, v8, s18
	v_mul_lo_u32 v12, v7, s19
	v_mad_co_u64_u32 v[10:11], null, v7, s18, 0
	s_add_nc_u64 s[14:15], s[14:15], 1
	s_add_nc_u64 s[12:13], s[12:13], 8
	s_wait_alu 0xfffe
	v_cmp_ge_u64_e64 s2, s[14:15], s[6:7]
	s_add_nc_u64 s[16:17], s[16:17], 8
	s_delay_alu instid0(VALU_DEP_2) | instskip(NEXT) | instid1(VALU_DEP_3)
	v_add3_u32 v4, v11, v12, v4
	v_sub_co_u32 v5, vcc_lo, v5, v10
	s_wait_alu 0xfffd
	s_delay_alu instid0(VALU_DEP_2) | instskip(SKIP_3) | instid1(VALU_DEP_2)
	v_sub_co_ci_u32_e32 v4, vcc_lo, v6, v4, vcc_lo
	s_and_b32 vcc_lo, exec_lo, s2
	s_wait_kmcnt 0x0
	v_mul_lo_u32 v6, s21, v5
	v_mul_lo_u32 v4, s20, v4
	v_mad_co_u64_u32 v[1:2], null, s20, v5, v[1:2]
	s_delay_alu instid0(VALU_DEP_1)
	v_add3_u32 v2, v6, v2, v4
	s_wait_alu 0xfffe
	s_cbranch_vccnz .LBB0_9
; %bb.7:                                ;   in Loop: Header=BB0_2 Depth=1
	v_dual_mov_b32 v5, v7 :: v_dual_mov_b32 v6, v8
	s_branch .LBB0_2
.LBB0_8:
	v_dual_mov_b32 v8, v6 :: v_dual_mov_b32 v7, v5
.LBB0_9:
	s_lshl_b64 s[2:3], s[6:7], 3
	v_mul_hi_u32 v3, 0x13b13b14, v0
	s_wait_alu 0xfffe
	s_add_nc_u64 s[2:3], s[10:11], s[2:3]
	v_and_b32_e32 v6, 3, v9
	s_load_b64 s[2:3], s[2:3], 0x0
	s_load_b64 s[0:1], s[0:1], 0x20
	s_delay_alu instid0(VALU_DEP_2) | instskip(NEXT) | instid1(VALU_DEP_1)
	v_mul_u32_u24_e32 v3, 13, v3
	v_sub_nc_u32_e32 v84, v0, v3
	s_delay_alu instid0(VALU_DEP_1)
	v_lshlrev_b32_e32 v99, 4, v84
	s_wait_kmcnt 0x0
	v_mul_lo_u32 v4, s2, v8
	v_mul_lo_u32 v5, s3, v7
	v_mad_co_u64_u32 v[1:2], null, s2, v7, v[1:2]
	v_cmp_gt_u64_e32 vcc_lo, s[0:1], v[7:8]
	s_delay_alu instid0(VALU_DEP_2) | instskip(SKIP_1) | instid1(VALU_DEP_2)
	v_add3_u32 v2, v5, v2, v4
	v_mul_u32_u24_e32 v4, 0xb7, v6
	v_lshlrev_b64_e32 v[0:1], 4, v[1:2]
	s_delay_alu instid0(VALU_DEP_2)
	v_lshlrev_b32_e32 v255, 4, v4
	scratch_store_b64 off, v[0:1], off      ; 8-byte Folded Spill
	s_and_saveexec_b32 s1, vcc_lo
	s_cbranch_execz .LBB0_11
; %bb.10:
	scratch_load_b64 v[2:3], off, off       ; 8-byte Folded Reload
	v_mov_b32_e32 v85, 0
	v_add3_u32 v56, 0, v255, v99
	s_delay_alu instid0(VALU_DEP_2) | instskip(SKIP_4) | instid1(VALU_DEP_2)
	v_lshlrev_b64_e32 v[0:1], 4, v[84:85]
	s_wait_loadcnt 0x0
	v_add_co_u32 v2, s0, s8, v2
	s_wait_alu 0xf1ff
	v_add_co_ci_u32_e64 v3, s0, s9, v3, s0
	v_add_co_u32 v52, s0, v2, v0
	s_wait_alu 0xf1ff
	s_delay_alu instid0(VALU_DEP_2)
	v_add_co_ci_u32_e64 v53, s0, v3, v1, s0
	s_clause 0xd
	global_load_b128 v[0:3], v[52:53], off
	global_load_b128 v[4:7], v[52:53], off offset:208
	global_load_b128 v[8:11], v[52:53], off offset:416
	;; [unrolled: 1-line block ×13, first 2 shown]
	s_wait_loadcnt 0xd
	ds_store_b128 v56, v[0:3]
	s_wait_loadcnt 0xc
	ds_store_b128 v56, v[4:7] offset:208
	s_wait_loadcnt 0xb
	ds_store_b128 v56, v[8:11] offset:416
	;; [unrolled: 2-line block ×13, first 2 shown]
.LBB0_11:
	s_wait_alu 0xfffe
	s_or_b32 exec_lo, exec_lo, s1
	v_add_nc_u32_e32 v0, 0, v99
	v_add_nc_u32_e32 v100, 0, v255
	global_wb scope:SCOPE_SE
	s_wait_storecnt_dscnt 0x0
	s_barrier_signal -1
	s_barrier_wait -1
	v_add_nc_u32_e32 v101, v0, v255
	v_add_nc_u32_e32 v98, v100, v99
	global_inv scope:SCOPE_SE
	s_mov_b32 s42, 0x4267c47c
	s_mov_b32 s22, 0x42a4c3d2
	ds_load_b128 v[64:67], v101 offset:224
	ds_load_b128 v[52:55], v98
	ds_load_b128 v[0:3], v101 offset:208
	ds_load_b128 v[32:35], v101 offset:432
	;; [unrolled: 1-line block ×6, first 2 shown]
	s_mov_b32 s36, 0x66966769
	s_mov_b32 s34, 0x2ef20147
	;; [unrolled: 1-line block ×15, first 2 shown]
	s_wait_dscnt 0x6
	v_add_f64_e32 v[4:5], v[52:53], v[64:65]
	v_add_f64_e32 v[6:7], v[54:55], v[66:67]
	s_mov_b32 s21, 0xbfcea1e5
	s_mov_b32 s3, 0x3fec55a7
	s_mov_b32 s15, 0x3fe22d96
	s_mov_b32 s13, 0x3fbedb7d
	s_mov_b32 s17, 0xbfd6b1d8
	s_mov_b32 s11, 0xbfe7f3cc
	s_mov_b32 s7, 0xbfef11f4
	s_mov_b32 s27, 0x3fddbe06
	s_mov_b32 s29, 0x3fea55e2
	s_mov_b32 s25, 0x3fefc445
	s_mov_b32 s39, 0x3fedeba7
	s_mov_b32 s41, 0x3fe5384d
	s_mov_b32 s31, 0x3fcea1e5
	s_mov_b32 s26, s42
	s_wait_alu 0xfffe
	s_mov_b32 s28, s22
	s_mov_b32 s24, s36
	;; [unrolled: 1-line block ×5, first 2 shown]
	v_cmp_ne_u32_e64 s0, 0, v84
	s_mov_b32 s33, exec_lo
	s_wait_dscnt 0x3
	s_delay_alu instid0(VALU_DEP_3) | instskip(NEXT) | instid1(VALU_DEP_3)
	v_add_f64_e32 v[4:5], v[4:5], v[68:69]
	v_add_f64_e32 v[6:7], v[6:7], v[70:71]
	s_wait_dscnt 0x1
	s_delay_alu instid0(VALU_DEP_2) | instskip(NEXT) | instid1(VALU_DEP_2)
	v_add_f64_e32 v[8:9], v[4:5], v[72:73]
	v_add_f64_e32 v[10:11], v[6:7], v[74:75]
	ds_load_b128 v[76:79], v101 offset:896
	ds_load_b128 v[4:7], v101 offset:1104
	;; [unrolled: 1-line block ×4, first 2 shown]
	s_wait_dscnt 0x2
	scratch_store_b128 off, v[4:7], off offset:8 ; 16-byte Folded Spill
	ds_load_b128 v[56:59], v101 offset:2688
	ds_load_b128 v[92:95], v101 offset:1344
	ds_load_b128 v[60:63], v101 offset:2464
	ds_load_b128 v[103:106], v101 offset:2240
	ds_load_b128 v[107:110], v101 offset:1792
	ds_load_b128 v[4:7], v101 offset:2896
	ds_load_b128 v[48:51], v101 offset:1552
	ds_load_b128 v[111:114], v101 offset:1568
	ds_load_b128 v[115:118], v101 offset:2016
	v_add_f64_e32 v[8:9], v[8:9], v[76:77]
	v_add_f64_e32 v[10:11], v[10:11], v[78:79]
	s_wait_dscnt 0x8
	v_add_f64_e64 v[119:120], v[66:67], -v[58:59]
	v_add_f64_e32 v[125:126], v[66:67], v[58:59]
	s_wait_dscnt 0x6
	v_add_f64_e64 v[127:128], v[70:71], -v[62:63]
	;; [unrolled: 3-line block ×3, first 2 shown]
	v_add_f64_e32 v[133:134], v[74:75], v[105:106]
	s_wait_dscnt 0x4
	v_add_f64_e32 v[88:89], v[80:81], v[107:108]
	v_add_f64_e64 v[74:75], v[80:81], -v[107:108]
	s_wait_dscnt 0x1
	v_add_f64_e32 v[66:67], v[92:93], v[111:112]
	v_add_f64_e64 v[70:71], v[92:93], -v[111:112]
	v_add_f64_e32 v[90:91], v[82:83], v[109:110]
	v_add_f64_e32 v[139:140], v[64:65], v[56:57]
	v_add_f64_e64 v[64:65], v[64:65], -v[56:57]
	v_add_f64_e32 v[135:136], v[72:73], v[103:104]
	v_add_f64_e64 v[72:73], v[72:73], -v[103:104]
	;; [unrolled: 2-line block ×3, first 2 shown]
	s_wait_dscnt 0x0
	v_add_f64_e32 v[96:97], v[76:77], v[115:116]
	v_add_f64_e64 v[76:77], v[76:77], -v[115:116]
	scratch_store_b128 off, v[4:7], off offset:24 ; 16-byte Folded Spill
	v_add_f64_e32 v[12:13], v[8:9], v[80:81]
	v_add_f64_e32 v[14:15], v[10:11], v[82:83]
	v_add_f64_e32 v[80:81], v[94:95], v[113:114]
	v_add_f64_e64 v[82:83], v[82:83], -v[109:110]
	v_mul_f64_e32 v[141:142], s[42:43], v[119:120]
	v_mul_f64_e32 v[143:144], s[22:23], v[119:120]
	;; [unrolled: 1-line block ×25, first 2 shown]
	s_wait_alu 0xfffe
	v_mul_f64_e32 v[189:190], s[24:25], v[127:128]
	v_mul_f64_e32 v[191:192], s[12:13], v[129:130]
	;; [unrolled: 1-line block ×8, first 2 shown]
	v_add_f64_e32 v[121:122], v[12:13], v[92:93]
	v_add_f64_e32 v[123:124], v[14:15], v[94:95]
	v_add_f64_e64 v[92:93], v[94:95], -v[113:114]
	v_add_f64_e32 v[94:95], v[78:79], v[117:118]
	v_add_f64_e64 v[78:79], v[78:79], -v[117:118]
	v_fma_f64 v[197:198], v[139:140], s[2:3], v[141:142]
	v_fma_f64 v[141:142], v[139:140], s[2:3], -v[141:142]
	v_fma_f64 v[199:200], v[139:140], s[14:15], v[143:144]
	v_fma_f64 v[205:206], v[64:65], s[28:29], v[149:150]
	;; [unrolled: 1-line block ×16, first 2 shown]
	v_fma_f64 v[165:166], v[137:138], s[16:17], -v[165:166]
	v_fma_f64 v[167:168], v[68:69], s[34:35], v[167:168]
	v_fma_f64 v[169:170], v[135:136], s[6:7], -v[169:170]
	v_fma_f64 v[171:172], v[72:73], s[20:21], v[171:172]
	v_fma_f64 v[227:228], v[137:138], s[6:7], v[173:174]
	;; [unrolled: 1-line block ×6, first 2 shown]
	v_fma_f64 v[185:186], v[135:136], s[2:3], -v[185:186]
	v_fma_f64 v[237:238], v[72:73], s[28:29], v[195:196]
	v_fma_f64 v[195:196], v[72:73], s[22:23], v[195:196]
	;; [unrolled: 1-line block ×5, first 2 shown]
	v_add_f64_e32 v[111:112], v[121:122], v[111:112]
	v_add_f64_e32 v[113:114], v[123:124], v[113:114]
	v_mul_f64_e32 v[121:122], s[34:35], v[119:120]
	v_mul_f64_e32 v[123:124], s[18:19], v[119:120]
	;; [unrolled: 1-line block ×3, first 2 shown]
	v_add_f64_e32 v[197:198], v[52:53], v[197:198]
	v_add_f64_e32 v[141:142], v[52:53], v[141:142]
	;; [unrolled: 1-line block ×12, first 2 shown]
	v_mul_f64_e32 v[243:244], s[26:27], v[78:79]
	v_mul_f64_e32 v[245:246], s[36:37], v[78:79]
	;; [unrolled: 1-line block ×4, first 2 shown]
	ds_load_b128 v[40:43], v101 offset:1776
	ds_load_b128 v[16:19], v101 offset:2448
	;; [unrolled: 1-line block ×5, first 2 shown]
	global_wb scope:SCOPE_SE
	s_wait_storecnt_dscnt 0x0
	s_barrier_signal -1
	s_barrier_wait -1
	global_inv scope:SCOPE_SE
	v_add_f64_e32 v[107:108], v[111:112], v[107:108]
	v_add_f64_e32 v[109:110], v[113:114], v[109:110]
	v_fma_f64 v[111:112], v[139:140], s[14:15], -v[143:144]
	v_fma_f64 v[113:114], v[139:140], s[12:13], v[145:146]
	v_fma_f64 v[143:144], v[139:140], s[12:13], -v[145:146]
	v_fma_f64 v[145:146], v[139:140], s[16:17], v[121:122]
	v_fma_f64 v[121:122], v[139:140], s[16:17], -v[121:122]
	v_fma_f64 v[201:202], v[139:140], s[10:11], v[123:124]
	v_fma_f64 v[123:124], v[139:140], s[10:11], -v[123:124]
	v_fma_f64 v[203:204], v[139:140], s[6:7], v[119:120]
	v_fma_f64 v[119:120], v[139:140], s[6:7], -v[119:120]
	v_fma_f64 v[139:140], v[64:65], s[26:27], v[147:148]
	v_fma_f64 v[147:148], v[64:65], s[42:43], v[147:148]
	v_fma_f64 v[64:65], v[64:65], s[20:21], v[125:126]
	;; [unrolled: 1-line block ×3, first 2 shown]
	v_add_f64_e32 v[149:150], v[167:168], v[149:150]
	v_mul_f64_e32 v[167:168], s[2:3], v[94:95]
	v_fma_f64 v[253:254], v[96:97], s[2:3], v[243:244]
	v_fma_f64 v[243:244], v[96:97], s[2:3], -v[243:244]
	v_fma_f64 v[85:86], v[96:97], s[12:13], v[245:246]
	v_fma_f64 v[245:246], v[96:97], s[12:13], -v[245:246]
	v_fma_f64 v[4:5], v[96:97], s[6:7], v[247:248]
	v_fma_f64 v[6:7], v[96:97], s[6:7], -v[247:248]
	v_fma_f64 v[247:248], v[96:97], s[14:15], v[249:250]
	v_fma_f64 v[249:250], v[96:97], s[14:15], -v[249:250]
	v_add_f64_e32 v[107:108], v[107:108], v[115:116]
	v_add_f64_e32 v[109:110], v[109:110], v[117:118]
	v_fma_f64 v[115:116], v[137:138], s[6:7], -v[173:174]
	v_fma_f64 v[117:118], v[68:69], s[20:21], v[175:176]
	v_fma_f64 v[173:174], v[135:136], s[16:17], -v[177:178]
	v_fma_f64 v[175:176], v[72:73], s[38:39], v[179:180]
	v_fma_f64 v[177:178], v[137:138], s[10:11], v[181:182]
	;; [unrolled: 1-line block ×3, first 2 shown]
	v_fma_f64 v[181:182], v[137:138], s[10:11], -v[181:182]
	v_fma_f64 v[183:184], v[68:69], s[40:41], v[183:184]
	v_add_f64_e32 v[111:112], v[52:53], v[111:112]
	v_add_f64_e32 v[139:140], v[54:55], v[139:140]
	;; [unrolled: 1-line block ×12, first 2 shown]
	v_fma_f64 v[64:65], v[137:138], s[12:13], v[189:190]
	v_fma_f64 v[119:120], v[68:69], s[36:37], v[191:192]
	v_add_f64_e32 v[149:150], v[171:172], v[149:150]
	v_mul_f64_e32 v[171:172], s[2:3], v[80:81]
	v_add_f64_e32 v[103:104], v[107:108], v[103:104]
	v_add_f64_e32 v[105:106], v[109:110], v[105:106]
	v_fma_f64 v[107:108], v[135:136], s[14:15], v[193:194]
	v_fma_f64 v[109:110], v[137:138], s[12:13], -v[189:190]
	v_fma_f64 v[189:190], v[68:69], s[24:25], v[191:192]
	v_fma_f64 v[191:192], v[135:136], s[14:15], -v[193:194]
	;; [unrolled: 2-line block ×3, first 2 shown]
	v_fma_f64 v[137:138], v[137:138], s[14:15], -v[157:158]
	v_fma_f64 v[157:158], v[68:69], s[42:43], v[129:130]
	v_fma_f64 v[129:130], v[68:69], s[26:27], v[129:130]
	;; [unrolled: 1-line block ×4, first 2 shown]
	v_fma_f64 v[131:132], v[135:136], s[10:11], -v[131:132]
	v_fma_f64 v[135:136], v[135:136], s[12:13], -v[161:162]
	v_fma_f64 v[161:162], v[72:73], s[42:43], v[187:188]
	v_fma_f64 v[187:188], v[72:73], s[26:27], v[187:188]
	;; [unrolled: 1-line block ×3, first 2 shown]
	v_mul_f64_e32 v[163:164], s[40:41], v[78:79]
	v_mul_f64_e32 v[78:79], s[34:35], v[78:79]
	v_add_f64_e32 v[115:116], v[115:116], v[143:144]
	v_add_f64_e32 v[117:118], v[117:118], v[151:152]
	;; [unrolled: 1-line block ×4, first 2 shown]
	v_mul_f64_e32 v[151:152], s[10:11], v[94:95]
	v_mul_f64_e32 v[177:178], s[12:13], v[94:95]
	;; [unrolled: 1-line block ×3, first 2 shown]
	v_add_f64_e32 v[111:112], v[165:166], v[111:112]
	v_add_f64_e32 v[165:166], v[229:230], v[207:208]
	;; [unrolled: 1-line block ×5, first 2 shown]
	v_mul_f64_e32 v[201:202], s[2:3], v[90:91]
	v_fma_f64 v[211:212], v[70:71], s[42:43], v[171:172]
	v_add_f64_e32 v[60:61], v[103:104], v[60:61]
	v_add_f64_e32 v[62:63], v[105:106], v[62:63]
	;; [unrolled: 1-line block ×4, first 2 shown]
	v_mul_f64_e32 v[189:190], s[14:15], v[90:91]
	v_add_f64_e32 v[52:53], v[127:128], v[52:53]
	v_add_f64_e32 v[127:128], v[137:138], v[141:142]
	v_add_f64_e32 v[155:156], v[157:158], v[213:214]
	v_add_f64_e32 v[54:55], v[129:130], v[54:55]
	v_add_f64_e32 v[68:69], v[68:69], v[147:148]
	v_mul_f64_e32 v[129:130], s[18:19], v[82:83]
	v_mul_f64_e32 v[137:138], s[10:11], v[90:91]
	;; [unrolled: 1-line block ×5, first 2 shown]
	v_fma_f64 v[251:252], v[96:97], s[10:11], v[163:164]
	v_fma_f64 v[8:9], v[96:97], s[16:17], v[78:79]
	v_fma_f64 v[10:11], v[96:97], s[16:17], -v[78:79]
	v_add_f64_e32 v[78:79], v[125:126], v[197:198]
	v_mul_f64_e32 v[197:198], s[14:15], v[94:95]
	v_mul_f64_e32 v[94:95], s[16:17], v[94:95]
	v_fma_f64 v[163:164], v[96:97], s[10:11], -v[163:164]
	v_add_f64_e32 v[96:97], v[215:216], v[139:140]
	v_add_f64_e32 v[125:126], v[219:220], v[199:200]
	;; [unrolled: 1-line block ×3, first 2 shown]
	v_fma_f64 v[199:200], v[76:77], s[18:19], v[151:152]
	v_fma_f64 v[151:152], v[76:77], s[40:41], v[151:152]
	;; [unrolled: 1-line block ×8, first 2 shown]
	v_add_f64_e32 v[165:166], v[233:234], v[165:166]
	v_add_f64_e32 v[117:118], v[175:176], v[117:118]
	;; [unrolled: 1-line block ×4, first 2 shown]
	v_mul_f64_e32 v[161:162], s[6:7], v[90:91]
	v_add_f64_e32 v[64:65], v[107:108], v[64:65]
	v_mul_f64_e32 v[107:108], s[26:27], v[82:83]
	v_add_f64_e32 v[119:120], v[237:238], v[119:120]
	v_add_f64_e32 v[109:110], v[191:192], v[109:110]
	;; [unrolled: 1-line block ×11, first 2 shown]
	v_mul_f64_e32 v[169:170], s[26:27], v[92:93]
	v_mul_f64_e32 v[173:174], s[18:19], v[92:93]
	;; [unrolled: 1-line block ×4, first 2 shown]
	v_fma_f64 v[135:136], v[88:89], s[12:13], v[157:158]
	v_add_f64_e32 v[78:79], v[217:218], v[78:79]
	v_fma_f64 v[215:216], v[76:77], s[22:23], v[197:198]
	v_fma_f64 v[197:198], v[76:77], s[28:29], v[197:198]
	;; [unrolled: 1-line block ×4, first 2 shown]
	v_add_f64_e32 v[94:95], v[181:182], v[121:122]
	v_add_f64_e32 v[121:122], v[183:184], v[153:154]
	;; [unrolled: 1-line block ×6, first 2 shown]
	v_mul_f64_e32 v[181:182], s[12:13], v[90:91]
	v_mul_f64_e32 v[183:184], s[22:23], v[82:83]
	;; [unrolled: 1-line block ×5, first 2 shown]
	v_fma_f64 v[203:204], v[74:75], s[40:41], v[137:138]
	v_add_f64_e32 v[165:166], v[205:206], v[165:166]
	v_fma_f64 v[217:218], v[74:75], s[42:43], v[201:202]
	v_add_f64_e32 v[117:118], v[167:168], v[117:118]
	v_fma_f64 v[167:168], v[74:75], s[26:27], v[201:202]
	v_fma_f64 v[205:206], v[88:89], s[2:3], v[107:108]
	v_fma_f64 v[107:108], v[88:89], s[2:3], -v[107:108]
	v_add_f64_e32 v[85:86], v[85:86], v[143:144]
	v_add_f64_e32 v[143:144], v[207:208], v[145:146]
	v_add_f64_e32 v[4:5], v[4:5], v[64:65]
	v_add_f64_e32 v[64:65], v[209:210], v[119:120]
	v_add_f64_e32 v[6:7], v[6:7], v[109:110]
	v_add_f64_e32 v[109:110], v[179:180], v[123:124]
	v_mul_f64_e32 v[175:176], s[10:11], v[80:81]
	v_fma_f64 v[157:158], v[88:89], s[12:13], -v[157:158]
	v_add_f64_e32 v[111:112], v[163:164], v[111:112]
	v_add_f64_e32 v[149:150], v[151:152], v[149:150]
	v_fma_f64 v[151:152], v[74:75], s[20:21], v[161:162]
	v_fma_f64 v[161:162], v[74:75], s[30:31], v[161:162]
	v_add_f64_e32 v[113:114], v[253:254], v[113:114]
	v_add_f64_e32 v[115:116], v[243:244], v[115:116]
	;; [unrolled: 1-line block ×11, first 2 shown]
	v_mul_f64_e32 v[185:186], s[28:29], v[92:93]
	v_mul_f64_e32 v[92:93], s[24:25], v[92:93]
	v_add_f64_e32 v[96:97], v[219:220], v[96:97]
	v_fma_f64 v[72:73], v[74:75], s[36:37], v[181:182]
	v_add_f64_e32 v[125:126], v[251:252], v[125:126]
	v_add_f64_e32 v[139:140], v[199:200], v[139:140]
	v_fma_f64 v[145:146], v[88:89], s[16:17], v[82:83]
	v_fma_f64 v[201:202], v[74:75], s[38:39], v[90:91]
	v_mul_f64_e32 v[187:188], s[14:15], v[80:81]
	v_fma_f64 v[181:182], v[74:75], s[24:25], v[181:182]
	v_fma_f64 v[213:214], v[88:89], s[14:15], v[183:184]
	;; [unrolled: 1-line block ×4, first 2 shown]
	v_fma_f64 v[193:194], v[88:89], s[6:7], -v[193:194]
	v_fma_f64 v[183:184], v[88:89], s[14:15], -v[183:184]
	v_fma_f64 v[189:190], v[74:75], s[22:23], v[189:190]
	v_fma_f64 v[159:160], v[88:89], s[10:11], v[129:130]
	v_fma_f64 v[82:83], v[88:89], s[16:17], -v[82:83]
	v_fma_f64 v[90:91], v[74:75], s[34:35], v[90:91]
	v_fma_f64 v[87:88], v[88:89], s[10:11], -v[129:130]
	v_fma_f64 v[74:75], v[74:75], s[18:19], v[137:138]
	v_mul_f64_e32 v[80:81], s[12:13], v[80:81]
	v_fma_f64 v[78:79], v[66:67], s[2:3], v[169:170]
	v_add_f64_e32 v[6:7], v[107:108], v[6:7]
	v_add_f64_e32 v[109:110], v[167:168], v[109:110]
	v_fma_f64 v[167:168], v[66:67], s[16:17], -v[191:192]
	v_add_f64_e32 v[103:104], v[157:158], v[111:112]
	v_fma_f64 v[111:112], v[66:67], s[2:3], -v[169:170]
	v_fma_f64 v[129:130], v[66:67], s[10:11], v[173:174]
	v_fma_f64 v[137:138], v[66:67], s[10:11], -v[173:174]
	v_fma_f64 v[131:132], v[66:67], s[6:7], v[141:142]
	v_fma_f64 v[133:134], v[70:71], s[30:31], v[147:148]
	v_add_f64_e32 v[143:144], v[151:152], v[143:144]
	v_fma_f64 v[141:142], v[66:67], s[6:7], -v[141:142]
	v_fma_f64 v[147:148], v[70:71], s[20:21], v[147:148]
	v_add_f64_e32 v[94:95], v[245:246], v[94:95]
	v_add_f64_e32 v[121:122], v[177:178], v[121:122]
	;; [unrolled: 1-line block ×3, first 2 shown]
	v_fma_f64 v[155:156], v[66:67], s[14:15], -v[185:186]
	v_add_f64_e32 v[4:5], v[205:206], v[4:5]
	v_add_f64_e32 v[76:77], v[203:204], v[96:97]
	;; [unrolled: 1-line block ×4, first 2 shown]
	v_fma_f64 v[125:126], v[70:71], s[26:27], v[171:172]
	v_fma_f64 v[171:172], v[70:71], s[34:35], v[195:196]
	;; [unrolled: 1-line block ×3, first 2 shown]
	v_add_f64_e32 v[105:106], v[181:182], v[149:150]
	v_add_f64_e32 v[113:114], v[213:214], v[113:114]
	;; [unrolled: 1-line block ×3, first 2 shown]
	v_fma_f64 v[157:158], v[70:71], s[28:29], v[187:188]
	v_fma_f64 v[139:140], v[70:71], s[18:19], v[175:176]
	v_add_f64_e32 v[115:116], v[183:184], v[115:116]
	v_add_f64_e32 v[117:118], v[189:190], v[117:118]
	;; [unrolled: 1-line block ×4, first 2 shown]
	v_fma_f64 v[149:150], v[66:67], s[14:15], v[185:186]
	v_fma_f64 v[151:152], v[70:71], s[22:23], v[187:188]
	v_add_f64_e32 v[10:11], v[87:88], v[10:11]
	v_add_f64_e32 v[173:174], v[74:75], v[68:69]
	v_fma_f64 v[159:160], v[66:67], s[16:17], v[191:192]
	v_add_f64_e32 v[163:164], v[82:83], v[52:53]
	v_add_f64_e32 v[165:166], v[90:91], v[54:55]
	;; [unrolled: 3-line block ×3, first 2 shown]
	v_add_f64_e32 v[153:154], v[193:194], v[94:95]
	v_add_f64_e32 v[121:122], v[161:162], v[121:122]
	v_add_f64_e32 v[107:108], v[145:146], v[119:120]
	v_add_f64_e32 v[119:120], v[201:202], v[123:124]
	v_fma_f64 v[123:124], v[66:67], s[12:13], v[92:93]
	v_add_f64_e32 v[94:95], v[217:218], v[64:65]
	v_fma_f64 v[161:162], v[70:71], s[38:39], v[195:196]
	v_fma_f64 v[145:146], v[70:71], s[36:37], v[80:81]
	v_fma_f64 v[92:93], v[66:67], s[12:13], -v[92:93]
	v_add_f64_e32 v[60:61], v[78:79], v[96:97]
	v_add_f64_e32 v[62:63], v[211:212], v[72:73]
	;; [unrolled: 1-line block ×16, first 2 shown]
	v_mad_u32_u24 v4, 0xd0, v84, v100
	v_add_f64_e32 v[103:104], v[155:156], v[153:154]
	v_add_f64_e32 v[105:106], v[157:158], v[121:122]
	;; [unrolled: 1-line block ×8, first 2 shown]
	ds_store_b128 v4, v[60:63] offset:32
	ds_store_b128 v4, v[68:71] offset:48
	ds_store_b128 v4, v[52:55]
	ds_store_b128 v4, v[56:59] offset:16
	ds_store_b128 v4, v[76:79] offset:64
	;; [unrolled: 1-line block ×10, first 2 shown]
	v_cmpx_eq_u32_e32 0, v84
	s_cbranch_execz .LBB0_13
; %bb.12:
	s_clause 0x1
	scratch_load_b128 v[199:202], off, off offset:8 th:TH_LOAD_LU
	scratch_load_b128 v[241:244], off, off offset:24 th:TH_LOAD_LU
	v_add_f64_e32 v[4:5], v[2:3], v[34:35]
	v_add_f64_e32 v[6:7], v[0:1], v[32:33]
	v_add_f64_e64 v[10:11], v[24:25], -v[16:17]
	v_add_f64_e64 v[66:67], v[36:37], -v[12:13]
	;; [unrolled: 1-line block ×3, first 2 shown]
	v_add_f64_e32 v[78:79], v[26:27], v[18:19]
	v_add_f64_e32 v[80:81], v[38:39], v[14:15]
	;; [unrolled: 1-line block ×3, first 2 shown]
	v_add_f64_e64 v[58:59], v[48:49], -v[40:41]
	v_add_f64_e32 v[52:53], v[50:51], v[42:43]
	v_add_f64_e64 v[60:61], v[44:45], -v[28:29]
	v_add_f64_e32 v[54:55], v[46:47], v[30:31]
	;; [unrolled: 2-line block ×4, first 2 shown]
	v_add_f64_e32 v[6:7], v[6:7], v[36:37]
	v_add_f64_e64 v[38:39], v[38:39], -v[14:15]
	v_add_f64_e32 v[36:37], v[36:37], v[12:13]
	v_mul_f64_e32 v[91:92], s[18:19], v[10:11]
	v_mul_f64_e32 v[93:94], s[26:27], v[66:67]
	;; [unrolled: 1-line block ×26, first 2 shown]
	v_add_f64_e32 v[4:5], v[4:5], v[26:27]
	v_add_f64_e32 v[6:7], v[6:7], v[24:25]
	v_mul_f64_e32 v[151:152], s[26:27], v[38:39]
	v_mul_f64_e32 v[153:154], s[24:25], v[38:39]
	;; [unrolled: 1-line block ×6, first 2 shown]
	v_fma_f64 v[189:190], v[78:79], s[10:11], v[91:92]
	v_fma_f64 v[191:192], v[80:81], s[2:3], v[93:94]
	v_fma_f64 v[91:92], v[78:79], s[10:11], -v[91:92]
	v_fma_f64 v[93:94], v[80:81], s[2:3], -v[93:94]
	v_fma_f64 v[203:204], v[80:81], s[12:13], v[111:112]
	v_fma_f64 v[111:112], v[80:81], s[12:13], -v[111:112]
	v_fma_f64 v[213:214], v[78:79], s[2:3], v[121:122]
	v_fma_f64 v[215:216], v[80:81], s[10:11], v[123:124]
	;; [unrolled: 1-line block ×4, first 2 shown]
	v_fma_f64 v[145:146], v[78:79], s[6:7], -v[145:146]
	v_fma_f64 v[147:148], v[80:81], s[16:17], -v[147:148]
	;; [unrolled: 1-line block ×3, first 2 shown]
	v_fma_f64 v[163:164], v[87:88], s[14:15], v[163:164]
	v_fma_f64 v[245:246], v[36:37], s[12:13], -v[153:154]
	v_fma_f64 v[153:154], v[36:37], s[12:13], v[153:154]
	v_fma_f64 v[247:248], v[36:37], s[10:11], -v[155:156]
	;; [unrolled: 2-line block ×3, first 2 shown]
	v_fma_f64 v[157:158], v[36:37], s[6:7], v[157:158]
	s_wait_loadcnt 0x1
	v_add_f64_e64 v[8:9], v[199:200], -v[20:21]
	s_wait_loadcnt 0x0
	v_add_f64_e64 v[68:69], v[32:33], -v[241:242]
	v_add_f64_e64 v[72:73], v[34:35], -v[243:244]
	v_add_f64_e32 v[4:5], v[4:5], v[201:202]
	v_add_f64_e32 v[6:7], v[6:7], v[199:200]
	v_add_f64_e64 v[70:71], v[201:202], -v[22:23]
	v_add_f64_e32 v[76:77], v[201:202], v[22:23]
	v_add_f64_e32 v[82:83], v[34:35], v[243:244]
	;; [unrolled: 1-line block ×5, first 2 shown]
	v_fma_f64 v[201:202], v[78:79], s[14:15], v[109:110]
	v_fma_f64 v[109:110], v[78:79], s[14:15], -v[109:110]
	v_mul_f64_e32 v[89:90], s[28:29], v[8:9]
	v_mul_f64_e32 v[95:96], s[20:21], v[68:69]
	;; [unrolled: 1-line block ×13, first 2 shown]
	v_add_f64_e32 v[4:5], v[4:5], v[46:47]
	v_add_f64_e32 v[6:7], v[6:7], v[44:45]
	v_mul_f64_e32 v[103:104], s[28:29], v[70:71]
	v_mul_f64_e32 v[107:108], s[30:31], v[8:9]
	;; [unrolled: 1-line block ×11, first 2 shown]
	v_fma_f64 v[44:45], v[78:79], s[2:3], -v[121:122]
	v_fma_f64 v[46:47], v[80:81], s[10:11], -v[123:124]
	v_fma_f64 v[121:122], v[78:79], s[16:17], v[133:134]
	v_fma_f64 v[123:124], v[80:81], s[6:7], v[135:136]
	v_fma_f64 v[133:134], v[78:79], s[16:17], -v[133:134]
	v_fma_f64 v[135:136], v[80:81], s[6:7], -v[135:136]
	v_fma_f64 v[187:188], v[76:77], s[14:15], v[89:90]
	v_fma_f64 v[193:194], v[82:83], s[6:7], v[95:96]
	;; [unrolled: 4-line block ×7, first 2 shown]
	v_fma_f64 v[233:234], v[32:33], s[2:3], -v[72:73]
	v_fma_f64 v[68:69], v[82:83], s[2:3], -v[68:69]
	v_fma_f64 v[32:33], v[32:33], s[2:3], v[72:73]
	v_add_f64_e32 v[4:5], v[4:5], v[50:51]
	v_add_f64_e32 v[6:7], v[6:7], v[48:49]
	v_fma_f64 v[195:196], v[85:86], s[14:15], -v[103:104]
	v_fma_f64 v[199:200], v[76:77], s[6:7], v[107:108]
	v_fma_f64 v[207:208], v[85:86], s[6:7], -v[115:116]
	v_fma_f64 v[107:108], v[76:77], s[6:7], -v[107:108]
	v_fma_f64 v[211:212], v[76:77], s[12:13], v[119:120]
	v_fma_f64 v[219:220], v[85:86], s[12:13], -v[127:128]
	v_fma_f64 v[119:120], v[76:77], s[12:13], -v[119:120]
	v_fma_f64 v[72:73], v[85:86], s[12:13], v[127:128]
	v_fma_f64 v[82:83], v[76:77], s[2:3], v[131:132]
	v_fma_f64 v[127:128], v[85:86], s[2:3], -v[139:140]
	v_fma_f64 v[131:132], v[76:77], s[2:3], -v[131:132]
	scratch_store_b64 off, v[187:188], off offset:40 ; 8-byte Folded Spill
	v_fma_f64 v[187:188], v[76:77], s[14:15], -v[89:90]
	v_fma_f64 v[89:90], v[85:86], s[14:15], v[103:104]
	v_fma_f64 v[102:103], v[85:86], s[6:7], v[115:116]
	;; [unrolled: 1-line block ×4, first 2 shown]
	v_fma_f64 v[253:254], v[85:86], s[10:11], -v[24:25]
	v_fma_f64 v[143:144], v[76:77], s[10:11], -v[143:144]
	v_fma_f64 v[24:25], v[85:86], s[10:11], v[24:25]
	v_fma_f64 v[115:116], v[76:77], s[16:17], v[8:9]
	v_fma_f64 v[8:9], v[76:77], s[16:17], -v[8:9]
	v_fma_f64 v[76:77], v[78:79], s[12:13], v[10:11]
	v_fma_f64 v[10:11], v[78:79], s[12:13], -v[10:11]
	;; [unrolled: 2-line block ×3, first 2 shown]
	v_fma_f64 v[80:81], v[85:86], s[16:17], -v[70:71]
	v_fma_f64 v[70:71], v[85:86], s[16:17], v[70:71]
	v_fma_f64 v[85:86], v[36:37], s[2:3], -v[151:152]
	v_fma_f64 v[151:152], v[36:37], s[2:3], v[151:152]
	;; [unrolled: 2-line block ×4, first 2 shown]
	v_add_f64_e32 v[193:194], v[2:3], v[193:194]
	v_add_f64_e32 v[197:198], v[0:1], v[197:198]
	;; [unrolled: 1-line block ×26, first 2 shown]
	v_fma_f64 v[40:41], v[87:88], s[6:7], -v[169:170]
	v_fma_f64 v[42:43], v[87:88], s[6:7], v[169:170]
	v_fma_f64 v[169:170], v[87:88], s[12:13], -v[74:75]
	v_fma_f64 v[74:75], v[87:88], s[12:13], v[74:75]
	;; [unrolled: 2-line block ×5, first 2 shown]
	v_mul_f64_e32 v[87:88], s[28:29], v[58:59]
	v_add_f64_e32 v[191:192], v[191:192], v[193:194]
	v_mul_f64_e32 v[193:194], s[30:31], v[60:61]
	v_add_f64_e32 v[85:86], v[85:86], v[197:198]
	v_add_f64_e32 v[93:94], v[93:94], v[95:96]
	;; [unrolled: 1-line block ×3, first 2 shown]
	v_mul_f64_e32 v[205:206], s[22:23], v[60:61]
	v_add_f64_e32 v[111:112], v[111:112], v[113:114]
	v_mul_f64_e32 v[113:114], s[22:23], v[64:65]
	v_add_f64_e32 v[215:216], v[215:216], v[217:218]
	v_mul_f64_e32 v[217:218], s[24:25], v[60:61]
	v_add_f64_e32 v[46:47], v[46:47], v[125:126]
	v_mul_f64_e32 v[60:61], s[18:19], v[60:61]
	v_add_f64_e32 v[123:124], v[123:124], v[223:224]
	v_fma_f64 v[223:224], v[54:55], s[16:17], v[173:174]
	v_add_f64_e32 v[135:136], v[135:136], v[137:138]
	v_fma_f64 v[173:174], v[54:55], s[16:17], -v[173:174]
	v_add_f64_e32 v[105:106], v[151:152], v[105:106]
	v_add_f64_e32 v[48:49], v[48:49], v[229:230]
	;; [unrolled: 1-line block ×5, first 2 shown]
	v_fma_f64 v[50:51], v[54:55], s[2:3], v[181:182]
	v_add_f64_e32 v[2:3], v[66:67], v[2:3]
	v_add_f64_e32 v[0:1], v[36:37], v[0:1]
	;; [unrolled: 1-line block ×5, first 2 shown]
	v_fma_f64 v[36:37], v[54:55], s[2:3], -v[181:182]
	v_add_f64_e32 v[147:148], v[147:148], v[149:150]
	v_add_f64_e32 v[141:142], v[157:158], v[141:142]
	;; [unrolled: 1-line block ×7, first 2 shown]
	v_mul_f64_e32 v[95:96], s[30:31], v[64:65]
	v_mul_f64_e32 v[125:126], s[24:25], v[64:65]
	;; [unrolled: 1-line block ×3, first 2 shown]
	v_add_f64_e32 v[189:190], v[189:190], v[191:192]
	v_fma_f64 v[181:182], v[54:55], s[6:7], v[193:194]
	v_fma_f64 v[193:194], v[54:55], s[6:7], -v[193:194]
	v_add_f64_e32 v[38:39], v[38:39], v[85:86]
	v_add_f64_e32 v[85:86], v[91:92], v[93:94]
	;; [unrolled: 1-line block ×4, first 2 shown]
	v_mul_f64_e32 v[197:198], s[28:29], v[62:63]
	v_mul_f64_e32 v[151:152], s[18:19], v[58:59]
	;; [unrolled: 1-line block ×3, first 2 shown]
	v_add_f64_e32 v[44:45], v[44:45], v[46:47]
	v_mul_f64_e32 v[153:154], s[26:27], v[58:59]
	v_add_f64_e32 v[121:122], v[121:122], v[123:124]
	v_mul_f64_e32 v[247:248], s[26:27], v[62:63]
	v_add_f64_e32 v[46:47], v[133:134], v[135:136]
	v_fma_f64 v[135:136], v[54:55], s[10:11], v[60:61]
	v_add_f64_e32 v[91:92], v[161:162], v[105:106]
	v_add_f64_e32 v[40:41], v[40:41], v[48:49]
	;; [unrolled: 1-line block ×5, first 2 shown]
	v_fma_f64 v[76:77], v[54:55], s[12:13], v[217:218]
	v_add_f64_e32 v[2:3], v[10:11], v[2:3]
	v_add_f64_e32 v[0:1], v[74:75], v[0:1]
	v_add_f64_e32 v[4:5], v[4:5], v[22:23]
	v_add_f64_e32 v[6:7], v[6:7], v[20:21]
	v_add_f64_e32 v[10:11], v[169:170], v[28:29]
	v_fma_f64 v[20:21], v[54:55], s[14:15], v[205:206]
	v_fma_f64 v[22:23], v[56:57], s[14:15], -v[113:114]
	v_fma_f64 v[28:29], v[54:55], s[14:15], -v[205:206]
	v_fma_f64 v[74:75], v[56:57], s[14:15], v[113:114]
	v_fma_f64 v[113:114], v[54:55], s[12:13], -v[217:218]
	v_fma_f64 v[54:55], v[54:55], s[10:11], -v[60:61]
	scratch_load_b64 v[60:61], off, off offset:40 th:TH_LOAD_LU ; 8-byte Folded Reload
	v_add_f64_e32 v[133:134], v[145:146], v[147:148]
	v_add_f64_e32 v[42:43], v[167:168], v[141:142]
	;; [unrolled: 1-line block ×8, first 2 shown]
	v_mul_f64_e32 v[58:59], s[20:21], v[58:59]
	v_mul_f64_e32 v[62:63], s[20:21], v[62:63]
	v_fma_f64 v[157:158], v[56:57], s[16:17], -v[177:178]
	v_fma_f64 v[177:178], v[56:57], s[16:17], v[177:178]
	v_fma_f64 v[239:240], v[56:57], s[2:3], -v[185:186]
	v_fma_f64 v[159:160], v[56:57], s[2:3], v[185:186]
	;; [unrolled: 2-line block ×5, first 2 shown]
	v_add_f64_e32 v[64:65], v[187:188], v[85:86]
	v_add_f64_e32 v[85:86], v[89:90], v[91:92]
	;; [unrolled: 1-line block ×16, first 2 shown]
	v_fma_f64 v[155:156], v[52:53], s[12:13], v[171:172]
	v_fma_f64 v[137:138], v[34:35], s[12:13], -v[175:176]
	v_add_f64_e32 v[107:108], v[143:144], v[133:134]
	v_add_f64_e32 v[26:27], v[139:140], v[42:43]
	;; [unrolled: 1-line block ×9, first 2 shown]
	v_fma_f64 v[171:172], v[52:53], s[12:13], -v[171:172]
	v_fma_f64 v[175:176], v[34:35], s[12:13], v[175:176]
	v_fma_f64 v[149:150], v[52:53], s[16:17], v[179:180]
	v_fma_f64 v[249:250], v[34:35], s[16:17], -v[183:184]
	v_fma_f64 v[30:31], v[52:53], s[16:17], -v[179:180]
	v_fma_f64 v[66:67], v[34:35], s[16:17], v[183:184]
	v_fma_f64 v[179:180], v[52:53], s[14:15], v[87:88]
	v_fma_f64 v[183:184], v[34:35], s[14:15], -v[197:198]
	;; [unrolled: 4-line block ×5, first 2 shown]
	v_fma_f64 v[52:53], v[52:53], s[6:7], -v[58:59]
	v_fma_f64 v[58:59], v[34:35], s[6:7], v[62:63]
	v_add_f64_e32 v[34:35], v[173:174], v[64:65]
	v_add_f64_e32 v[32:33], v[185:186], v[32:33]
	;; [unrolled: 1-line block ×47, first 2 shown]
	s_wait_loadcnt 0x0
	v_add_f64_e32 v[60:61], v[60:61], v[189:190]
	s_delay_alu instid0(VALU_DEP_1) | instskip(SKIP_1) | instid1(VALU_DEP_2)
	v_add_f64_e32 v[16:17], v[223:224], v[60:61]
	v_add_f64_e32 v[60:61], v[239:240], v[91:92]
	;; [unrolled: 1-line block ×4, first 2 shown]
	s_delay_alu instid0(VALU_DEP_3)
	v_add_f64_e32 v[12:13], v[249:250], v[60:61]
	ds_store_b128 v100, v[32:35] offset:2736
	ds_store_b128 v100, v[28:31] offset:2752
	;; [unrolled: 1-line block ×13, first 2 shown]
.LBB0_13:
	s_or_b32 exec_lo, exec_lo, s33
	v_add_nc_u16 v0, v84, 26
	v_mov_b32_e32 v85, 0
	v_add_nc_u16 v1, v84, 39
	v_add_nc_u16 v5, v84, 52
	;; [unrolled: 1-line block ×3, first 2 shown]
	v_and_b32_e32 v4, 0xff, v0
	v_add_nc_u16 v10, v84, 0x4e
	v_and_b32_e32 v7, 0xff, v1
	v_and_b32_e32 v11, 0xff, v5
	;; [unrolled: 1-line block ×3, first 2 shown]
	v_mul_lo_u16 v4, 0x4f, v4
	v_and_b32_e32 v13, 0xff, v10
	v_mul_lo_u16 v7, 0x4f, v7
	v_mul_lo_u16 v11, 0x4f, v11
	;; [unrolled: 1-line block ×3, first 2 shown]
	v_lshrrev_b16 v4, 10, v4
	v_mul_lo_u16 v13, 0x4f, v13
	v_lshrrev_b16 v7, 10, v7
	v_lshrrev_b16 v11, 10, v11
	;; [unrolled: 1-line block ×3, first 2 shown]
	v_mul_lo_u16 v4, v4, 13
	v_lshlrev_b64_e32 v[8:9], 4, v[84:85]
	global_wb scope:SCOPE_SE
	s_wait_storecnt_dscnt 0x0
	v_mul_lo_u16 v11, v11, 13
	v_mul_lo_u16 v12, v12, 13
	v_sub_nc_u16 v0, v0, v4
	v_mul_lo_u16 v4, v7, 13
	v_lshrrev_b16 v7, 10, v13
	v_add_co_u32 v2, s1, s4, v8
	s_delay_alu instid0(VALU_DEP_4) | instskip(NEXT) | instid1(VALU_DEP_4)
	v_and_b32_e32 v0, 0xff, v0
	v_sub_nc_u16 v1, v1, v4
	s_delay_alu instid0(VALU_DEP_4)
	v_mul_lo_u16 v4, v7, 13
	v_sub_nc_u16 v5, v5, v11
	s_wait_alu 0xf1ff
	v_add_co_ci_u32_e64 v3, s1, s5, v9, s1
	v_sub_nc_u16 v6, v6, v12
	v_lshlrev_b32_e32 v76, 4, v0
	v_and_b32_e32 v0, 0xff, v1
	v_sub_nc_u16 v1, v10, v4
	v_and_b32_e32 v10, 0xff, v5
	s_barrier_signal -1
	s_barrier_wait -1
	global_inv scope:SCOPE_SE
	v_and_b32_e32 v14, 0xff, v6
	global_load_b128 v[4:7], v[2:3], off
	v_lshlrev_b32_e32 v77, 4, v0
	v_and_b32_e32 v0, 0xff, v1
	v_lshlrev_b32_e32 v78, 4, v10
	global_load_b128 v[10:13], v76, s[4:5]
	v_lshlrev_b32_e32 v79, 4, v14
	global_load_b128 v[14:17], v77, s[4:5]
	v_lshlrev_b32_e32 v80, 4, v0
	s_clause 0x2
	global_load_b128 v[18:21], v78, s[4:5]
	global_load_b128 v[22:25], v79, s[4:5]
	global_load_b128 v[26:29], v80, s[4:5]
	ds_load_b128 v[30:33], v101 offset:1456
	ds_load_b128 v[34:37], v101 offset:1664
	;; [unrolled: 1-line block ×8, first 2 shown]
	s_mov_b32 s2, 0x37e14327
	s_mov_b32 s6, 0x36b3c0b5
	;; [unrolled: 1-line block ×13, first 2 shown]
	s_wait_alu 0xfffe
	s_mov_b32 s18, s16
	s_wait_loadcnt_dscnt 0x507
	v_mul_f64_e32 v[0:1], v[32:33], v[6:7]
	v_mul_f64_e32 v[62:63], v[30:31], v[6:7]
	s_wait_dscnt 0x6
	v_mul_f64_e32 v[64:65], v[36:37], v[6:7]
	v_mul_f64_e32 v[6:7], v[34:35], v[6:7]
	s_wait_loadcnt_dscnt 0x405
	v_mul_f64_e32 v[66:67], v[40:41], v[12:13]
	v_mul_f64_e32 v[12:13], v[38:39], v[12:13]
	s_wait_loadcnt_dscnt 0x304
	;; [unrolled: 3-line block ×5, first 2 shown]
	v_mul_f64_e32 v[74:75], v[56:57], v[28:29]
	v_mul_f64_e32 v[28:29], v[54:55], v[28:29]
	v_fma_f64 v[0:1], v[30:31], v[4:5], v[0:1]
	v_fma_f64 v[32:33], v[32:33], v[4:5], -v[62:63]
	v_fma_f64 v[34:35], v[34:35], v[4:5], v[64:65]
	v_fma_f64 v[36:37], v[36:37], v[4:5], -v[6:7]
	;; [unrolled: 2-line block ×7, first 2 shown]
	ds_load_b128 v[4:7], v98
	ds_load_b128 v[10:13], v101 offset:208
	ds_load_b128 v[14:17], v101 offset:416
	;; [unrolled: 1-line block ×5, first 2 shown]
	global_wb scope:SCOPE_SE
	s_wait_dscnt 0x0
	s_barrier_signal -1
	s_barrier_wait -1
	global_inv scope:SCOPE_SE
	v_add3_u32 v62, 0, v77, v255
	v_add3_u32 v63, 0, v78, v255
	;; [unrolled: 1-line block ×4, first 2 shown]
	v_add_f64_e64 v[30:31], v[4:5], -v[0:1]
	v_add_f64_e64 v[32:33], v[6:7], -v[32:33]
	;; [unrolled: 1-line block ×14, first 2 shown]
	v_mul_u32_u24_e32 v0, 6, v84
	v_add3_u32 v1, 0, v76, v255
	s_delay_alu instid0(VALU_DEP_2)
	v_lshlrev_b32_e32 v0, 4, v0
	v_fma_f64 v[4:5], v[4:5], 2.0, -v[30:31]
	v_fma_f64 v[6:7], v[6:7], 2.0, -v[32:33]
	;; [unrolled: 1-line block ×14, first 2 shown]
	ds_store_b128 v101, v[4:7]
	ds_store_b128 v101, v[30:33] offset:208
	ds_store_b128 v101, v[10:13] offset:416
	ds_store_b128 v101, v[34:37] offset:624
	ds_store_b128 v1, v[14:17] offset:832
	ds_store_b128 v1, v[38:41] offset:1040
	ds_store_b128 v62, v[18:21] offset:1248
	ds_store_b128 v62, v[42:45] offset:1456
	ds_store_b128 v63, v[22:25] offset:1664
	ds_store_b128 v63, v[46:49] offset:1872
	ds_store_b128 v64, v[26:29] offset:2080
	ds_store_b128 v64, v[50:53] offset:2288
	ds_store_b128 v65, v[58:61] offset:2496
	ds_store_b128 v65, v[54:57] offset:2704
	global_wb scope:SCOPE_SE
	s_wait_dscnt 0x0
	s_barrier_signal -1
	s_barrier_wait -1
	global_inv scope:SCOPE_SE
	s_clause 0xb
	global_load_b128 v[4:7], v0, s[4:5] offset:208
	global_load_b128 v[10:13], v0, s[4:5] offset:224
	;; [unrolled: 1-line block ×12, first 2 shown]
	ds_load_b128 v[54:57], v101 offset:416
	ds_load_b128 v[58:61], v101 offset:832
	;; [unrolled: 1-line block ×12, first 2 shown]
	s_wait_loadcnt_dscnt 0xb0b
	v_mul_f64_e32 v[0:1], v[56:57], v[6:7]
	v_mul_f64_e32 v[6:7], v[54:55], v[6:7]
	s_wait_loadcnt_dscnt 0xa0a
	v_mul_f64_e32 v[82:83], v[60:61], v[12:13]
	v_mul_f64_e32 v[12:13], v[58:59], v[12:13]
	;; [unrolled: 3-line block ×9, first 2 shown]
	s_wait_loadcnt 0x2
	v_mul_f64_e32 v[124:125], v[94:95], v[44:45]
	v_mul_f64_e32 v[44:45], v[92:93], v[44:45]
	v_fma_f64 v[0:1], v[54:55], v[4:5], v[0:1]
	v_fma_f64 v[4:5], v[56:57], v[4:5], -v[6:7]
	v_fma_f64 v[6:7], v[58:59], v[10:11], v[82:83]
	v_fma_f64 v[10:11], v[60:61], v[10:11], -v[12:13]
	;; [unrolled: 2-line block ×4, first 2 shown]
	s_wait_loadcnt_dscnt 0x101
	v_mul_f64_e32 v[20:21], v[108:109], v[48:49]
	v_mul_f64_e32 v[48:49], v[106:107], v[48:49]
	s_wait_loadcnt_dscnt 0x0
	v_mul_f64_e32 v[54:55], v[112:113], v[52:53]
	v_mul_f64_e32 v[52:53], v[110:111], v[52:53]
	v_fma_f64 v[56:57], v[70:71], v[22:23], v[114:115]
	v_fma_f64 v[22:23], v[72:73], v[22:23], -v[24:25]
	v_fma_f64 v[24:25], v[74:75], v[26:27], v[116:117]
	v_fma_f64 v[26:27], v[76:77], v[26:27], -v[28:29]
	v_fma_f64 v[28:29], v[78:79], v[30:31], v[118:119]
	v_fma_f64 v[30:31], v[80:81], v[30:31], -v[32:33]
	v_fma_f64 v[32:33], v[88:89], v[34:35], v[120:121]
	v_fma_f64 v[34:35], v[90:91], v[34:35], -v[36:37]
	v_fma_f64 v[36:37], v[102:103], v[38:39], v[122:123]
	v_fma_f64 v[38:39], v[104:105], v[38:39], -v[40:41]
	v_fma_f64 v[40:41], v[92:93], v[42:43], v[124:125]
	v_fma_f64 v[42:43], v[94:95], v[42:43], -v[44:45]
	v_add_f64_e32 v[44:45], v[0:1], v[12:13]
	v_add_f64_e32 v[58:59], v[4:5], v[14:15]
	;; [unrolled: 1-line block ×4, first 2 shown]
	v_fma_f64 v[20:21], v[106:107], v[46:47], v[20:21]
	v_fma_f64 v[46:47], v[108:109], v[46:47], -v[48:49]
	v_fma_f64 v[48:49], v[110:111], v[50:51], v[54:55]
	v_fma_f64 v[50:51], v[112:113], v[50:51], -v[52:53]
	v_add_f64_e64 v[16:17], v[6:7], -v[16:17]
	v_add_f64_e64 v[18:19], v[10:11], -v[18:19]
	;; [unrolled: 1-line block ×4, first 2 shown]
	v_add_f64_e32 v[52:53], v[56:57], v[28:29]
	v_add_f64_e32 v[54:55], v[22:23], v[30:31]
	;; [unrolled: 1-line block ×4, first 2 shown]
	v_add_f64_e64 v[24:25], v[24:25], -v[32:33]
	v_add_f64_e64 v[26:27], v[26:27], -v[34:35]
	v_add_f64_e32 v[68:69], v[36:37], v[40:41]
	v_add_f64_e32 v[70:71], v[38:39], v[42:43]
	v_add_f64_e64 v[36:37], v[40:41], -v[36:37]
	v_add_f64_e64 v[38:39], v[42:43], -v[38:39]
	;; [unrolled: 1-line block ×4, first 2 shown]
	v_add_f64_e32 v[4:5], v[60:61], v[44:45]
	v_add_f64_e32 v[6:7], v[62:63], v[58:59]
	;; [unrolled: 1-line block ×4, first 2 shown]
	v_add_f64_e64 v[20:21], v[48:49], -v[20:21]
	v_add_f64_e64 v[32:33], v[50:51], -v[46:47]
	;; [unrolled: 1-line block ×4, first 2 shown]
	v_add_f64_e32 v[30:31], v[64:65], v[52:53]
	v_add_f64_e32 v[34:35], v[66:67], v[54:55]
	v_add_f64_e64 v[40:41], v[44:45], -v[68:69]
	v_add_f64_e64 v[42:43], v[58:59], -v[70:71]
	;; [unrolled: 1-line block ×10, first 2 shown]
	v_add_f64_e32 v[16:17], v[36:37], v[16:17]
	v_add_f64_e32 v[18:19], v[38:39], v[18:19]
	v_add_f64_e64 v[36:37], v[0:1], -v[36:37]
	v_add_f64_e64 v[38:39], v[14:15], -v[38:39]
	v_add_f64_e32 v[68:69], v[68:69], v[4:5]
	v_add_f64_e32 v[70:71], v[70:71], v[6:7]
	v_add_f64_e64 v[76:77], v[52:53], -v[10:11]
	v_add_f64_e64 v[78:79], v[54:55], -v[12:13]
	;; [unrolled: 1-line block ×6, first 2 shown]
	v_add_f64_e32 v[24:25], v[20:21], v[24:25]
	v_add_f64_e32 v[26:27], v[32:33], v[26:27]
	;; [unrolled: 1-line block ×4, first 2 shown]
	ds_load_b128 v[4:7], v98
	ds_load_b128 v[10:13], v101 offset:208
	v_mul_f64_e32 v[93:94], s[12:13], v[72:73]
	v_mul_f64_e32 v[40:41], s[2:3], v[40:41]
	;; [unrolled: 1-line block ×8, first 2 shown]
	v_add_f64_e64 v[20:21], v[28:29], -v[20:21]
	v_add_f64_e64 v[32:33], v[22:23], -v[32:33]
	v_mul_f64_e32 v[102:103], s[12:13], v[85:86]
	v_mul_f64_e32 v[104:105], s[12:13], v[87:88]
	v_add_f64_e64 v[52:53], v[64:65], -v[52:53]
	v_add_f64_e64 v[54:55], v[66:67], -v[54:55]
	v_add_f64_e32 v[0:1], v[16:17], v[0:1]
	v_add_f64_e32 v[14:15], v[18:19], v[14:15]
	global_wb scope:SCOPE_SE
	s_wait_dscnt 0x0
	s_barrier_signal -1
	s_barrier_wait -1
	global_inv scope:SCOPE_SE
	v_add_f64_e32 v[4:5], v[4:5], v[68:69]
	v_add_f64_e32 v[6:7], v[6:7], v[70:71]
	v_mul_f64_e32 v[76:77], s[2:3], v[76:77]
	v_mul_f64_e32 v[78:79], s[2:3], v[78:79]
	;; [unrolled: 1-line block ×6, first 2 shown]
	s_mov_b32 s2, 0x5476071b
	s_mov_b32 s3, 0x3fe77f67
	v_add_f64_e32 v[10:11], v[10:11], v[30:31]
	v_add_f64_e32 v[12:13], v[12:13], v[34:35]
	s_mov_b32 s11, 0xbfe77f67
	s_wait_alu 0xfffe
	s_mov_b32 s10, s2
	v_add_f64_e32 v[16:17], v[24:25], v[28:29]
	v_add_f64_e32 v[18:19], v[26:27], v[22:23]
	v_fma_f64 v[22:23], v[46:47], s[6:7], v[40:41]
	v_fma_f64 v[24:25], v[48:49], s[6:7], v[42:43]
	v_fma_f64 v[26:27], v[44:45], s[2:3], -v[60:61]
	v_fma_f64 v[28:29], v[58:59], s[2:3], -v[62:63]
	v_fma_f64 v[46:47], v[36:37], s[16:17], v[50:51]
	v_fma_f64 v[48:49], v[38:39], s[16:17], v[56:57]
	v_fma_f64 v[50:51], v[72:73], s[12:13], -v[50:51]
	v_fma_f64 v[36:37], v[36:37], s[18:19], -v[93:94]
	v_fma_f64 v[38:39], v[38:39], s[18:19], -v[95:96]
	v_fma_f64 v[56:57], v[74:75], s[12:13], -v[56:57]
	s_wait_alu 0xfffe
	v_fma_f64 v[40:41], v[44:45], s[10:11], -v[40:41]
	v_fma_f64 v[42:43], v[58:59], s[10:11], -v[42:43]
	v_fma_f64 v[60:61], v[68:69], s[14:15], v[4:5]
	v_fma_f64 v[62:63], v[70:71], s[14:15], v[6:7]
	;; [unrolled: 1-line block ×6, first 2 shown]
	v_fma_f64 v[74:75], v[87:88], s[12:13], -v[82:83]
	v_fma_f64 v[72:73], v[85:86], s[12:13], -v[80:81]
	;; [unrolled: 1-line block ×4, first 2 shown]
	v_fma_f64 v[30:31], v[30:31], s[14:15], v[10:11]
	v_fma_f64 v[34:35], v[34:35], s[14:15], v[12:13]
	v_fma_f64 v[76:77], v[52:53], s[10:11], -v[76:77]
	v_fma_f64 v[78:79], v[54:55], s[10:11], -v[78:79]
	;; [unrolled: 1-line block ×4, first 2 shown]
	s_mov_b32 s2, 0x37c3f68c
	s_mov_b32 s3, 0xbfdc38aa
	s_wait_alu 0xfffe
	v_fma_f64 v[46:47], v[0:1], s[2:3], v[46:47]
	v_fma_f64 v[48:49], v[14:15], s[2:3], v[48:49]
	;; [unrolled: 1-line block ×6, first 2 shown]
	v_add_f64_e32 v[38:39], v[22:23], v[60:61]
	v_add_f64_e32 v[64:65], v[24:25], v[62:63]
	;; [unrolled: 1-line block ×6, first 2 shown]
	v_fma_f64 v[60:61], v[16:17], s[2:3], v[68:69]
	v_fma_f64 v[62:63], v[18:19], s[2:3], v[70:71]
	;; [unrolled: 1-line block ×6, first 2 shown]
	v_add_f64_e32 v[74:75], v[44:45], v[30:31]
	v_add_f64_e32 v[80:81], v[58:59], v[34:35]
	;; [unrolled: 1-line block ×7, first 2 shown]
	v_add_f64_e64 v[16:17], v[64:65], -v[46:47]
	v_add_f64_e32 v[18:19], v[36:37], v[40:41]
	v_add_f64_e64 v[30:31], v[40:41], -v[36:37]
	v_add_f64_e64 v[34:35], v[38:39], -v[48:49]
	;; [unrolled: 1-line block ×3, first 2 shown]
	v_add_f64_e32 v[32:33], v[0:1], v[42:43]
	v_add_f64_e64 v[22:23], v[26:27], -v[56:57]
	v_add_f64_e32 v[24:25], v[50:51], v[28:29]
	v_add_f64_e32 v[36:37], v[46:47], v[64:65]
	;; [unrolled: 1-line block ×3, first 2 shown]
	v_add_f64_e64 v[28:29], v[28:29], -v[50:51]
	v_add_f64_e32 v[38:39], v[62:63], v[74:75]
	v_add_f64_e64 v[40:41], v[80:81], -v[60:61]
	v_add_f64_e32 v[42:43], v[72:73], v[58:59]
	v_add_f64_e64 v[44:45], v[76:77], -v[70:71]
	v_add_f64_e64 v[46:47], v[52:53], -v[68:69]
	v_add_f64_e32 v[48:49], v[66:67], v[54:55]
	v_add_f64_e32 v[50:51], v[68:69], v[52:53]
	v_add_f64_e64 v[52:53], v[54:55], -v[66:67]
	v_add_f64_e64 v[54:55], v[58:59], -v[72:73]
	v_add_f64_e32 v[56:57], v[70:71], v[76:77]
	v_add_f64_e64 v[58:59], v[74:75], -v[62:63]
	v_add_f64_e32 v[60:61], v[60:61], v[80:81]
	ds_store_b128 v101, v[4:7]
	ds_store_b128 v101, v[10:13] offset:208
	ds_store_b128 v101, v[14:17] offset:416
	;; [unrolled: 1-line block ×13, first 2 shown]
	global_wb scope:SCOPE_SE
	s_wait_dscnt 0x0
	s_barrier_signal -1
	s_barrier_wait -1
	global_inv scope:SCOPE_SE
	ds_load_b128 v[4:7], v98
	v_sub_nc_u32_e32 v14, v100, v99
                                        ; implicit-def: $vgpr0_vgpr1
                                        ; implicit-def: $vgpr10_vgpr11
                                        ; implicit-def: $vgpr12_vgpr13
	s_and_saveexec_b32 s1, s0
	s_wait_alu 0xfffe
	s_xor_b32 s0, exec_lo, s1
	s_cbranch_execz .LBB0_15
; %bb.14:
	global_load_b128 v[15:18], v[2:3], off offset:2704
	ds_load_b128 v[0:3], v14 offset:2912
                                        ; implicit-def: $vgpr100
	s_wait_dscnt 0x0
	v_add_f64_e64 v[10:11], v[4:5], -v[0:1]
	v_add_f64_e32 v[12:13], v[6:7], v[2:3]
	v_add_f64_e64 v[2:3], v[6:7], -v[2:3]
	v_add_f64_e32 v[0:1], v[4:5], v[0:1]
	s_delay_alu instid0(VALU_DEP_4) | instskip(NEXT) | instid1(VALU_DEP_4)
	v_mul_f64_e32 v[6:7], 0.5, v[10:11]
	v_mul_f64_e32 v[4:5], 0.5, v[12:13]
	s_delay_alu instid0(VALU_DEP_4) | instskip(SKIP_1) | instid1(VALU_DEP_3)
	v_mul_f64_e32 v[2:3], 0.5, v[2:3]
	s_wait_loadcnt 0x0
	v_mul_f64_e32 v[10:11], v[6:7], v[17:18]
	s_delay_alu instid0(VALU_DEP_2) | instskip(SKIP_1) | instid1(VALU_DEP_3)
	v_fma_f64 v[12:13], v[4:5], v[17:18], v[2:3]
	v_fma_f64 v[2:3], v[4:5], v[17:18], -v[2:3]
	v_fma_f64 v[19:20], v[0:1], 0.5, v[10:11]
	v_fma_f64 v[0:1], v[0:1], 0.5, -v[10:11]
	s_delay_alu instid0(VALU_DEP_4) | instskip(NEXT) | instid1(VALU_DEP_4)
	v_fma_f64 v[12:13], -v[15:16], v[6:7], v[12:13]
	v_fma_f64 v[2:3], -v[15:16], v[6:7], v[2:3]
	s_delay_alu instid0(VALU_DEP_4) | instskip(NEXT) | instid1(VALU_DEP_4)
	v_fma_f64 v[10:11], v[4:5], v[15:16], v[19:20]
	v_fma_f64 v[0:1], -v[4:5], v[15:16], v[0:1]
                                        ; implicit-def: $vgpr4_vgpr5
.LBB0_15:
	s_wait_alu 0xfffe
	s_and_not1_saveexec_b32 s0, s0
	s_cbranch_execz .LBB0_17
; %bb.16:
	s_wait_dscnt 0x0
	v_add_f64_e32 v[10:11], v[4:5], v[6:7]
	v_add_f64_e64 v[0:1], v[4:5], -v[6:7]
	ds_load_b64 v[4:5], v100 offset:1464
	v_mov_b32_e32 v12, 0
	v_mov_b32_e32 v13, 0
	s_delay_alu instid0(VALU_DEP_1)
	v_dual_mov_b32 v2, v12 :: v_dual_mov_b32 v3, v13
	s_wait_dscnt 0x0
	v_xor_b32_e32 v5, 0x80000000, v5
	ds_store_b64 v100, v[4:5] offset:1464
.LBB0_17:
	s_wait_alu 0xfffe
	s_or_b32 exec_lo, exec_lo, s0
	s_add_nc_u64 s[0:1], s[4:5], 0xa90
	s_wait_alu 0xfffe
	v_add_co_u32 v19, s0, s0, v8
	s_wait_alu 0xf1ff
	v_add_co_ci_u32_e64 v20, s0, s1, v9, s0
	s_wait_dscnt 0x0
	s_clause 0x1
	global_load_b128 v[4:7], v[19:20], off offset:208
	global_load_b128 v[15:18], v[19:20], off offset:416
	ds_store_2addr_b64 v98, v[10:11], v[12:13] offset1:1
	ds_store_b128 v14, v[0:3] offset:2912
	ds_load_b128 v[0:3], v98 offset:208
	ds_load_b128 v[10:13], v14 offset:2704
	s_wait_dscnt 0x0
	v_add_f64_e64 v[21:22], v[0:1], -v[10:11]
	v_add_f64_e32 v[23:24], v[2:3], v[12:13]
	v_add_f64_e64 v[2:3], v[2:3], -v[12:13]
	v_add_f64_e32 v[0:1], v[0:1], v[10:11]
	s_delay_alu instid0(VALU_DEP_4) | instskip(NEXT) | instid1(VALU_DEP_4)
	v_mul_f64_e32 v[12:13], 0.5, v[21:22]
	v_mul_f64_e32 v[21:22], 0.5, v[23:24]
	s_delay_alu instid0(VALU_DEP_4) | instskip(SKIP_1) | instid1(VALU_DEP_3)
	v_mul_f64_e32 v[2:3], 0.5, v[2:3]
	s_wait_loadcnt 0x1
	v_mul_f64_e32 v[10:11], v[12:13], v[6:7]
	s_delay_alu instid0(VALU_DEP_2) | instskip(SKIP_1) | instid1(VALU_DEP_3)
	v_fma_f64 v[23:24], v[21:22], v[6:7], v[2:3]
	v_fma_f64 v[2:3], v[21:22], v[6:7], -v[2:3]
	v_fma_f64 v[6:7], v[0:1], 0.5, v[10:11]
	v_fma_f64 v[0:1], v[0:1], 0.5, -v[10:11]
	s_delay_alu instid0(VALU_DEP_4) | instskip(NEXT) | instid1(VALU_DEP_4)
	v_fma_f64 v[10:11], -v[4:5], v[12:13], v[23:24]
	v_fma_f64 v[2:3], -v[4:5], v[12:13], v[2:3]
	s_delay_alu instid0(VALU_DEP_4) | instskip(NEXT) | instid1(VALU_DEP_4)
	v_fma_f64 v[12:13], v[21:22], v[4:5], v[6:7]
	v_fma_f64 v[0:1], -v[21:22], v[4:5], v[0:1]
	global_load_b128 v[4:7], v[19:20], off offset:624
	ds_store_2addr_b64 v98, v[12:13], v[10:11] offset0:26 offset1:27
	ds_store_b128 v14, v[0:3] offset:2704
	ds_load_b128 v[0:3], v98 offset:416
	ds_load_b128 v[10:13], v14 offset:2496
	s_wait_dscnt 0x0
	v_add_f64_e64 v[21:22], v[0:1], -v[10:11]
	v_add_f64_e32 v[23:24], v[2:3], v[12:13]
	v_add_f64_e64 v[2:3], v[2:3], -v[12:13]
	v_add_f64_e32 v[0:1], v[0:1], v[10:11]
	s_delay_alu instid0(VALU_DEP_4) | instskip(NEXT) | instid1(VALU_DEP_4)
	v_mul_f64_e32 v[12:13], 0.5, v[21:22]
	v_mul_f64_e32 v[21:22], 0.5, v[23:24]
	s_delay_alu instid0(VALU_DEP_4) | instskip(SKIP_1) | instid1(VALU_DEP_3)
	v_mul_f64_e32 v[2:3], 0.5, v[2:3]
	s_wait_loadcnt 0x1
	v_mul_f64_e32 v[10:11], v[12:13], v[17:18]
	s_delay_alu instid0(VALU_DEP_2) | instskip(SKIP_1) | instid1(VALU_DEP_3)
	v_fma_f64 v[23:24], v[21:22], v[17:18], v[2:3]
	v_fma_f64 v[2:3], v[21:22], v[17:18], -v[2:3]
	v_fma_f64 v[17:18], v[0:1], 0.5, v[10:11]
	v_fma_f64 v[0:1], v[0:1], 0.5, -v[10:11]
	s_delay_alu instid0(VALU_DEP_4) | instskip(NEXT) | instid1(VALU_DEP_4)
	v_fma_f64 v[23:24], -v[15:16], v[12:13], v[23:24]
	v_fma_f64 v[2:3], -v[15:16], v[12:13], v[2:3]
	global_load_b128 v[10:13], v[19:20], off offset:832
	v_fma_f64 v[17:18], v[21:22], v[15:16], v[17:18]
	v_fma_f64 v[0:1], -v[21:22], v[15:16], v[0:1]
	ds_store_2addr_b64 v98, v[17:18], v[23:24] offset0:52 offset1:53
	ds_store_b128 v14, v[0:3] offset:2496
	ds_load_b128 v[0:3], v98 offset:624
	ds_load_b128 v[15:18], v14 offset:2288
	s_wait_dscnt 0x0
	v_add_f64_e64 v[21:22], v[0:1], -v[15:16]
	v_add_f64_e32 v[23:24], v[2:3], v[17:18]
	v_add_f64_e64 v[2:3], v[2:3], -v[17:18]
	v_add_f64_e32 v[0:1], v[0:1], v[15:16]
	s_delay_alu instid0(VALU_DEP_4) | instskip(NEXT) | instid1(VALU_DEP_4)
	v_mul_f64_e32 v[17:18], 0.5, v[21:22]
	v_mul_f64_e32 v[21:22], 0.5, v[23:24]
	s_delay_alu instid0(VALU_DEP_4) | instskip(SKIP_1) | instid1(VALU_DEP_3)
	v_mul_f64_e32 v[2:3], 0.5, v[2:3]
	s_wait_loadcnt 0x1
	v_mul_f64_e32 v[15:16], v[17:18], v[6:7]
	s_delay_alu instid0(VALU_DEP_2) | instskip(SKIP_1) | instid1(VALU_DEP_3)
	v_fma_f64 v[23:24], v[21:22], v[6:7], v[2:3]
	v_fma_f64 v[2:3], v[21:22], v[6:7], -v[2:3]
	v_fma_f64 v[6:7], v[0:1], 0.5, v[15:16]
	v_fma_f64 v[0:1], v[0:1], 0.5, -v[15:16]
	s_delay_alu instid0(VALU_DEP_4) | instskip(NEXT) | instid1(VALU_DEP_4)
	v_fma_f64 v[15:16], -v[4:5], v[17:18], v[23:24]
	v_fma_f64 v[2:3], -v[4:5], v[17:18], v[2:3]
	s_delay_alu instid0(VALU_DEP_4) | instskip(NEXT) | instid1(VALU_DEP_4)
	v_fma_f64 v[17:18], v[21:22], v[4:5], v[6:7]
	v_fma_f64 v[0:1], -v[21:22], v[4:5], v[0:1]
	global_load_b128 v[4:7], v[19:20], off offset:1040
	ds_store_2addr_b64 v98, v[17:18], v[15:16] offset0:78 offset1:79
	ds_store_b128 v14, v[0:3] offset:2288
	ds_load_b128 v[0:3], v98 offset:832
	ds_load_b128 v[15:18], v14 offset:2080
	s_wait_dscnt 0x0
	v_add_f64_e64 v[21:22], v[0:1], -v[15:16]
	v_add_f64_e32 v[23:24], v[2:3], v[17:18]
	v_add_f64_e64 v[2:3], v[2:3], -v[17:18]
	v_add_f64_e32 v[0:1], v[0:1], v[15:16]
	s_delay_alu instid0(VALU_DEP_4) | instskip(NEXT) | instid1(VALU_DEP_4)
	v_mul_f64_e32 v[17:18], 0.5, v[21:22]
	v_mul_f64_e32 v[21:22], 0.5, v[23:24]
	s_delay_alu instid0(VALU_DEP_4) | instskip(SKIP_1) | instid1(VALU_DEP_3)
	v_mul_f64_e32 v[2:3], 0.5, v[2:3]
	s_wait_loadcnt 0x1
	v_mul_f64_e32 v[15:16], v[17:18], v[12:13]
	s_delay_alu instid0(VALU_DEP_2) | instskip(SKIP_1) | instid1(VALU_DEP_3)
	v_fma_f64 v[23:24], v[21:22], v[12:13], v[2:3]
	v_fma_f64 v[2:3], v[21:22], v[12:13], -v[2:3]
	v_fma_f64 v[12:13], v[0:1], 0.5, v[15:16]
	v_fma_f64 v[0:1], v[0:1], 0.5, -v[15:16]
	s_delay_alu instid0(VALU_DEP_4) | instskip(NEXT) | instid1(VALU_DEP_4)
	v_fma_f64 v[15:16], -v[10:11], v[17:18], v[23:24]
	v_fma_f64 v[2:3], -v[10:11], v[17:18], v[2:3]
	s_delay_alu instid0(VALU_DEP_4) | instskip(NEXT) | instid1(VALU_DEP_4)
	v_fma_f64 v[17:18], v[21:22], v[10:11], v[12:13]
	v_fma_f64 v[0:1], -v[21:22], v[10:11], v[0:1]
	global_load_b128 v[10:13], v[19:20], off offset:1248
	ds_store_2addr_b64 v98, v[17:18], v[15:16] offset0:104 offset1:105
	ds_store_b128 v14, v[0:3] offset:2080
	ds_load_b128 v[0:3], v98 offset:1040
	ds_load_b128 v[15:18], v14 offset:1872
	s_wait_dscnt 0x0
	v_add_f64_e64 v[19:20], v[0:1], -v[15:16]
	v_add_f64_e32 v[21:22], v[2:3], v[17:18]
	v_add_f64_e64 v[2:3], v[2:3], -v[17:18]
	v_add_f64_e32 v[0:1], v[0:1], v[15:16]
	s_delay_alu instid0(VALU_DEP_4) | instskip(NEXT) | instid1(VALU_DEP_4)
	v_mul_f64_e32 v[17:18], 0.5, v[19:20]
	v_mul_f64_e32 v[19:20], 0.5, v[21:22]
	s_delay_alu instid0(VALU_DEP_4) | instskip(SKIP_1) | instid1(VALU_DEP_3)
	v_mul_f64_e32 v[2:3], 0.5, v[2:3]
	s_wait_loadcnt 0x1
	v_mul_f64_e32 v[15:16], v[17:18], v[6:7]
	s_delay_alu instid0(VALU_DEP_2) | instskip(SKIP_1) | instid1(VALU_DEP_3)
	v_fma_f64 v[21:22], v[19:20], v[6:7], v[2:3]
	v_fma_f64 v[2:3], v[19:20], v[6:7], -v[2:3]
	v_fma_f64 v[6:7], v[0:1], 0.5, v[15:16]
	v_fma_f64 v[0:1], v[0:1], 0.5, -v[15:16]
	s_delay_alu instid0(VALU_DEP_4) | instskip(NEXT) | instid1(VALU_DEP_4)
	v_fma_f64 v[15:16], -v[4:5], v[17:18], v[21:22]
	v_fma_f64 v[2:3], -v[4:5], v[17:18], v[2:3]
	s_delay_alu instid0(VALU_DEP_4) | instskip(NEXT) | instid1(VALU_DEP_4)
	v_fma_f64 v[6:7], v[19:20], v[4:5], v[6:7]
	v_fma_f64 v[0:1], -v[19:20], v[4:5], v[0:1]
	ds_store_2addr_b64 v98, v[6:7], v[15:16] offset0:130 offset1:131
	ds_store_b128 v14, v[0:3] offset:1872
	ds_load_b128 v[0:3], v98 offset:1248
	ds_load_b128 v[4:7], v14 offset:1664
	s_wait_dscnt 0x0
	v_add_f64_e64 v[15:16], v[0:1], -v[4:5]
	v_add_f64_e32 v[17:18], v[2:3], v[6:7]
	v_add_f64_e64 v[2:3], v[2:3], -v[6:7]
	v_add_f64_e32 v[0:1], v[0:1], v[4:5]
	s_delay_alu instid0(VALU_DEP_4) | instskip(NEXT) | instid1(VALU_DEP_4)
	v_mul_f64_e32 v[6:7], 0.5, v[15:16]
	v_mul_f64_e32 v[15:16], 0.5, v[17:18]
	s_delay_alu instid0(VALU_DEP_4) | instskip(SKIP_1) | instid1(VALU_DEP_3)
	v_mul_f64_e32 v[2:3], 0.5, v[2:3]
	s_wait_loadcnt 0x0
	v_mul_f64_e32 v[4:5], v[6:7], v[12:13]
	s_delay_alu instid0(VALU_DEP_2) | instskip(SKIP_1) | instid1(VALU_DEP_3)
	v_fma_f64 v[17:18], v[15:16], v[12:13], v[2:3]
	v_fma_f64 v[2:3], v[15:16], v[12:13], -v[2:3]
	v_fma_f64 v[12:13], v[0:1], 0.5, v[4:5]
	v_fma_f64 v[0:1], v[0:1], 0.5, -v[4:5]
	s_delay_alu instid0(VALU_DEP_4) | instskip(NEXT) | instid1(VALU_DEP_4)
	v_fma_f64 v[4:5], -v[10:11], v[6:7], v[17:18]
	v_fma_f64 v[2:3], -v[10:11], v[6:7], v[2:3]
	s_delay_alu instid0(VALU_DEP_4) | instskip(NEXT) | instid1(VALU_DEP_4)
	v_fma_f64 v[6:7], v[15:16], v[10:11], v[12:13]
	v_fma_f64 v[0:1], -v[15:16], v[10:11], v[0:1]
	ds_store_2addr_b64 v98, v[6:7], v[4:5] offset0:156 offset1:157
	ds_store_b128 v14, v[0:3] offset:1664
	global_wb scope:SCOPE_SE
	s_wait_dscnt 0x0
	s_barrier_signal -1
	s_barrier_wait -1
	global_inv scope:SCOPE_SE
	s_and_saveexec_b32 s0, vcc_lo
	s_cbranch_execz .LBB0_20
; %bb.18:
	scratch_load_b64 v[0:1], off, off th:TH_LOAD_LU ; 8-byte Folded Reload
	ds_load_b128 v[2:5], v98
	ds_load_b128 v[10:13], v98 offset:208
	ds_load_b128 v[14:17], v98 offset:416
	;; [unrolled: 1-line block ×13, first 2 shown]
	s_wait_loadcnt 0x0
	v_add_co_u32 v0, vcc_lo, s8, v0
	s_wait_alu 0xfffd
	v_add_co_ci_u32_e32 v1, vcc_lo, s9, v1, vcc_lo
	s_delay_alu instid0(VALU_DEP_2) | instskip(SKIP_1) | instid1(VALU_DEP_2)
	v_add_co_u32 v6, vcc_lo, v0, v8
	s_wait_alu 0xfffd
	v_add_co_ci_u32_e32 v7, vcc_lo, v1, v9, vcc_lo
	v_cmp_eq_u32_e32 vcc_lo, 12, v84
	s_wait_dscnt 0xd
	global_store_b128 v[6:7], v[2:5], off
	s_wait_dscnt 0xc
	global_store_b128 v[6:7], v[10:13], off offset:208
	s_wait_dscnt 0xb
	global_store_b128 v[6:7], v[14:17], off offset:416
	;; [unrolled: 2-line block ×13, first 2 shown]
	s_and_b32 exec_lo, exec_lo, vcc_lo
	s_cbranch_execz .LBB0_20
; %bb.19:
	ds_load_b128 v[2:5], v98 offset:2720
	s_wait_dscnt 0x0
	global_store_b128 v[0:1], v[2:5], off offset:2912
.LBB0_20:
	s_nop 0
	s_sendmsg sendmsg(MSG_DEALLOC_VGPRS)
	s_endpgm
	.section	.rodata,"a",@progbits
	.p2align	6, 0x0
	.amdhsa_kernel fft_rtc_back_len182_factors_13_2_7_wgs_52_tpt_13_dp_ip_CI_unitstride_sbrr_R2C_dirReg
		.amdhsa_group_segment_fixed_size 0
		.amdhsa_private_segment_fixed_size 52
		.amdhsa_kernarg_size 88
		.amdhsa_user_sgpr_count 2
		.amdhsa_user_sgpr_dispatch_ptr 0
		.amdhsa_user_sgpr_queue_ptr 0
		.amdhsa_user_sgpr_kernarg_segment_ptr 1
		.amdhsa_user_sgpr_dispatch_id 0
		.amdhsa_user_sgpr_private_segment_size 0
		.amdhsa_wavefront_size32 1
		.amdhsa_uses_dynamic_stack 0
		.amdhsa_enable_private_segment 1
		.amdhsa_system_sgpr_workgroup_id_x 1
		.amdhsa_system_sgpr_workgroup_id_y 0
		.amdhsa_system_sgpr_workgroup_id_z 0
		.amdhsa_system_sgpr_workgroup_info 0
		.amdhsa_system_vgpr_workitem_id 0
		.amdhsa_next_free_vgpr 256
		.amdhsa_next_free_sgpr 44
		.amdhsa_reserve_vcc 1
		.amdhsa_float_round_mode_32 0
		.amdhsa_float_round_mode_16_64 0
		.amdhsa_float_denorm_mode_32 3
		.amdhsa_float_denorm_mode_16_64 3
		.amdhsa_fp16_overflow 0
		.amdhsa_workgroup_processor_mode 1
		.amdhsa_memory_ordered 1
		.amdhsa_forward_progress 0
		.amdhsa_round_robin_scheduling 0
		.amdhsa_exception_fp_ieee_invalid_op 0
		.amdhsa_exception_fp_denorm_src 0
		.amdhsa_exception_fp_ieee_div_zero 0
		.amdhsa_exception_fp_ieee_overflow 0
		.amdhsa_exception_fp_ieee_underflow 0
		.amdhsa_exception_fp_ieee_inexact 0
		.amdhsa_exception_int_div_zero 0
	.end_amdhsa_kernel
	.text
.Lfunc_end0:
	.size	fft_rtc_back_len182_factors_13_2_7_wgs_52_tpt_13_dp_ip_CI_unitstride_sbrr_R2C_dirReg, .Lfunc_end0-fft_rtc_back_len182_factors_13_2_7_wgs_52_tpt_13_dp_ip_CI_unitstride_sbrr_R2C_dirReg
                                        ; -- End function
	.section	.AMDGPU.csdata,"",@progbits
; Kernel info:
; codeLenInByte = 12252
; NumSgprs: 46
; NumVgprs: 256
; ScratchSize: 52
; MemoryBound: 0
; FloatMode: 240
; IeeeMode: 1
; LDSByteSize: 0 bytes/workgroup (compile time only)
; SGPRBlocks: 5
; VGPRBlocks: 31
; NumSGPRsForWavesPerEU: 46
; NumVGPRsForWavesPerEU: 256
; Occupancy: 5
; WaveLimiterHint : 1
; COMPUTE_PGM_RSRC2:SCRATCH_EN: 1
; COMPUTE_PGM_RSRC2:USER_SGPR: 2
; COMPUTE_PGM_RSRC2:TRAP_HANDLER: 0
; COMPUTE_PGM_RSRC2:TGID_X_EN: 1
; COMPUTE_PGM_RSRC2:TGID_Y_EN: 0
; COMPUTE_PGM_RSRC2:TGID_Z_EN: 0
; COMPUTE_PGM_RSRC2:TIDIG_COMP_CNT: 0
	.text
	.p2alignl 7, 3214868480
	.fill 96, 4, 3214868480
	.type	__hip_cuid_2755f919f7dcbd4d,@object ; @__hip_cuid_2755f919f7dcbd4d
	.section	.bss,"aw",@nobits
	.globl	__hip_cuid_2755f919f7dcbd4d
__hip_cuid_2755f919f7dcbd4d:
	.byte	0                               ; 0x0
	.size	__hip_cuid_2755f919f7dcbd4d, 1

	.ident	"AMD clang version 19.0.0git (https://github.com/RadeonOpenCompute/llvm-project roc-6.4.0 25133 c7fe45cf4b819c5991fe208aaa96edf142730f1d)"
	.section	".note.GNU-stack","",@progbits
	.addrsig
	.addrsig_sym __hip_cuid_2755f919f7dcbd4d
	.amdgpu_metadata
---
amdhsa.kernels:
  - .args:
      - .actual_access:  read_only
        .address_space:  global
        .offset:         0
        .size:           8
        .value_kind:     global_buffer
      - .offset:         8
        .size:           8
        .value_kind:     by_value
      - .actual_access:  read_only
        .address_space:  global
        .offset:         16
        .size:           8
        .value_kind:     global_buffer
      - .actual_access:  read_only
        .address_space:  global
        .offset:         24
        .size:           8
        .value_kind:     global_buffer
      - .offset:         32
        .size:           8
        .value_kind:     by_value
      - .actual_access:  read_only
        .address_space:  global
        .offset:         40
        .size:           8
        .value_kind:     global_buffer
      - .actual_access:  read_only
        .address_space:  global
        .offset:         48
        .size:           8
        .value_kind:     global_buffer
      - .offset:         56
        .size:           4
        .value_kind:     by_value
      - .actual_access:  read_only
        .address_space:  global
        .offset:         64
        .size:           8
        .value_kind:     global_buffer
      - .actual_access:  read_only
        .address_space:  global
        .offset:         72
        .size:           8
        .value_kind:     global_buffer
      - .address_space:  global
        .offset:         80
        .size:           8
        .value_kind:     global_buffer
    .group_segment_fixed_size: 0
    .kernarg_segment_align: 8
    .kernarg_segment_size: 88
    .language:       OpenCL C
    .language_version:
      - 2
      - 0
    .max_flat_workgroup_size: 52
    .name:           fft_rtc_back_len182_factors_13_2_7_wgs_52_tpt_13_dp_ip_CI_unitstride_sbrr_R2C_dirReg
    .private_segment_fixed_size: 52
    .sgpr_count:     46
    .sgpr_spill_count: 0
    .symbol:         fft_rtc_back_len182_factors_13_2_7_wgs_52_tpt_13_dp_ip_CI_unitstride_sbrr_R2C_dirReg.kd
    .uniform_work_group_size: 1
    .uses_dynamic_stack: false
    .vgpr_count:     256
    .vgpr_spill_count: 12
    .wavefront_size: 32
    .workgroup_processor_mode: 1
amdhsa.target:   amdgcn-amd-amdhsa--gfx1201
amdhsa.version:
  - 1
  - 2
...

	.end_amdgpu_metadata
